;; amdgpu-corpus repo=ROCm/rocFFT kind=compiled arch=gfx1030 opt=O3
	.text
	.amdgcn_target "amdgcn-amd-amdhsa--gfx1030"
	.amdhsa_code_object_version 6
	.protected	bluestein_single_back_len170_dim1_sp_op_CI_CI ; -- Begin function bluestein_single_back_len170_dim1_sp_op_CI_CI
	.globl	bluestein_single_back_len170_dim1_sp_op_CI_CI
	.p2align	8
	.type	bluestein_single_back_len170_dim1_sp_op_CI_CI,@function
bluestein_single_back_len170_dim1_sp_op_CI_CI: ; @bluestein_single_back_len170_dim1_sp_op_CI_CI
; %bb.0:
	s_load_dwordx4 s[0:3], s[4:5], 0x28
	v_mul_u32_u24_e32 v1, 0xf10, v0
	v_lshrrev_b32_e32 v1, 16, v1
	v_mad_u64_u32 v[48:49], null, s6, 7, v[1:2]
	v_mov_b32_e32 v49, 0
	s_waitcnt lgkmcnt(0)
	v_cmp_gt_u64_e32 vcc_lo, s[0:1], v[48:49]
	s_and_saveexec_b32 s0, vcc_lo
	s_cbranch_execz .LBB0_15
; %bb.1:
	v_mul_hi_u32 v2, 0x24924925, v48
	v_mul_lo_u16 v1, v1, 17
	s_clause 0x1
	s_load_dwordx2 s[6:7], s[4:5], 0x0
	s_load_dwordx2 s[12:13], s[4:5], 0x38
	v_sub_nc_u16 v0, v0, v1
	v_sub_nc_u32_e32 v3, v48, v2
	v_and_b32_e32 v70, 0xffff, v0
	v_cmp_gt_u16_e32 vcc_lo, 10, v0
	v_lshrrev_b32_e32 v3, 1, v3
	v_lshlrev_b32_e32 v68, 3, v70
	v_or_b32_e32 v69, 0x50, v70
	v_add_nc_u32_e32 v2, v3, v2
	v_or_b32_e32 v67, 0xa0, v70
	v_lshrrev_b32_e32 v2, 2, v2
	v_mul_lo_u32 v2, v2, 7
	v_sub_nc_u32_e32 v1, v48, v2
	v_mul_u32_u24_e32 v46, 0xaa, v1
	v_lshlrev_b32_e32 v71, 3, v46
	s_and_saveexec_b32 s1, vcc_lo
	s_cbranch_execz .LBB0_3
; %bb.2:
	s_load_dwordx2 s[8:9], s[4:5], 0x18
	s_waitcnt lgkmcnt(0)
	global_load_dwordx2 v[4:5], v68, s[6:7]
	s_load_dwordx4 s[8:11], s[8:9], 0x0
	s_waitcnt lgkmcnt(0)
	v_mad_u64_u32 v[0:1], null, s10, v48, 0
	v_mad_u64_u32 v[2:3], null, s8, v70, 0
	;; [unrolled: 1-line block ×3, first 2 shown]
	s_mul_i32 s0, s9, 0x50
	s_mul_hi_u32 s10, s8, 0x50
	s_add_i32 s10, s10, s0
	v_mad_u64_u32 v[6:7], null, s11, v48, v[1:2]
	global_load_dwordx2 v[7:8], v68, s[6:7] offset:640
	s_mul_i32 s11, s8, 0x50
	v_mov_b32_e32 v1, v6
	v_lshlrev_b64 v[0:1], 3, v[0:1]
	v_add_co_u32 v26, s0, s2, v0
	v_add_co_ci_u32_e64 v27, s0, s3, v1, s0
	s_waitcnt vmcnt(1)
	v_mad_u64_u32 v[9:10], null, s9, v70, v[3:4]
	v_mad_u64_u32 v[10:11], null, s8, v69, 0
	v_mov_b32_e32 v3, v9
	v_mov_b32_e32 v9, v13
	v_mov_b32_e32 v6, v11
	v_lshlrev_b64 v[2:3], 3, v[2:3]
	v_mad_u64_u32 v[13:14], null, s9, v67, v[9:10]
	s_waitcnt vmcnt(0)
	v_mad_u64_u32 v[0:1], null, s9, v69, v[6:7]
	v_add_co_u32 v1, s0, v26, v2
	v_add_co_ci_u32_e64 v2, s0, v27, v3, s0
	v_add_co_u32 v14, s0, v1, s11
	v_add_co_ci_u32_e64 v15, s0, s10, v2, s0
	v_mov_b32_e32 v11, v0
	v_add_co_u32 v16, s0, v14, s11
	v_add_co_ci_u32_e64 v17, s0, s10, v15, s0
	v_lshlrev_b64 v[9:10], 3, v[10:11]
	v_add_co_u32 v18, s0, v16, s11
	v_add_co_ci_u32_e64 v19, s0, s10, v17, s0
	v_lshlrev_b64 v[11:12], 3, v[12:13]
	v_add_co_u32 v20, s0, v18, s11
	v_add_co_ci_u32_e64 v21, s0, s10, v19, s0
	v_add_co_u32 v22, s0, v20, s11
	v_add_co_ci_u32_e64 v23, s0, s10, v21, s0
	;; [unrolled: 2-line block ×6, first 2 shown]
	global_load_dwordx2 v[0:1], v[1:2], off
	global_load_dwordx2 v[2:3], v68, s[6:7] offset:1280
	s_clause 0x2
	global_load_dwordx2 v[9:10], v[9:10], off
	global_load_dwordx2 v[11:12], v[11:12], off
	;; [unrolled: 1-line block ×3, first 2 shown]
	s_clause 0x2
	global_load_dwordx2 v[30:31], v68, s[6:7] offset:80
	global_load_dwordx2 v[32:33], v68, s[6:7] offset:160
	;; [unrolled: 1-line block ×3, first 2 shown]
	global_load_dwordx2 v[15:16], v[16:17], off
	s_clause 0x2
	global_load_dwordx2 v[36:37], v68, s[6:7] offset:720
	global_load_dwordx2 v[38:39], v68, s[6:7] offset:800
	;; [unrolled: 1-line block ×3, first 2 shown]
	s_clause 0x1
	global_load_dwordx2 v[17:18], v[18:19], off
	global_load_dwordx2 v[19:20], v[20:21], off
	v_mad_u64_u32 v[28:29], null, 0xa0, s8, v[26:27]
	v_mov_b32_e32 v6, v29
	v_add_co_u32 v59, s0, v28, s11
	v_mad_u64_u32 v[42:43], null, 0xa0, s9, v[6:7]
	s_clause 0x5
	global_load_dwordx2 v[43:44], v68, s[6:7] offset:320
	global_load_dwordx2 v[49:50], v68, s[6:7] offset:400
	;; [unrolled: 1-line block ×6, first 2 shown]
	global_load_dwordx2 v[21:22], v[22:23], off
	global_load_dwordx2 v[23:24], v[24:25], off
	;; [unrolled: 1-line block ×3, first 2 shown]
	v_mov_b32_e32 v29, v42
	v_add_nc_u32_e32 v42, v71, v68
	v_add_co_ci_u32_e64 v60, s0, s10, v29, s0
	v_add_co_u32 v61, s0, v59, s11
	global_load_dwordx2 v[27:28], v[28:29], off
	v_add_co_ci_u32_e64 v62, s0, s10, v60, s0
	v_add_co_u32 v63, s0, v61, s11
	global_load_dwordx2 v[59:60], v[59:60], off
	v_add_co_ci_u32_e64 v64, s0, s10, v62, s0
	v_add_co_u32 v65, s0, v63, s11
	global_load_dwordx2 v[61:62], v[61:62], off
	v_add_co_ci_u32_e64 v66, s0, s10, v64, s0
	v_add_co_u32 v72, s0, v65, s11
	global_load_dwordx2 v[63:64], v[63:64], off
	v_add_co_ci_u32_e64 v73, s0, s10, v66, s0
	v_add_co_u32 v74, s0, v72, s11
	global_load_dwordx2 v[65:66], v[65:66], off
	v_add_co_ci_u32_e64 v75, s0, s10, v73, s0
	global_load_dwordx2 v[72:73], v[72:73], off
	s_clause 0x1
	global_load_dwordx2 v[76:77], v68, s[6:7] offset:1120
	global_load_dwordx2 v[78:79], v68, s[6:7] offset:1200
	global_load_dwordx2 v[74:75], v[74:75], off
	v_lshl_add_u32 v29, v70, 3, v71
	s_waitcnt vmcnt(31)
	v_mul_f32_e32 v80, v1, v5
	v_mul_f32_e32 v6, v0, v5
	s_waitcnt vmcnt(29)
	v_mul_f32_e32 v5, v10, v8
	v_mul_f32_e32 v45, v9, v8
	s_waitcnt vmcnt(28)
	v_mul_f32_e32 v8, v12, v3
	v_fmac_f32_e32 v80, v0, v4
	v_fma_f32 v81, v1, v4, -v6
	s_waitcnt vmcnt(26)
	v_mul_f32_e32 v0, v14, v31
	v_fmac_f32_e32 v5, v9, v7
	v_fma_f32 v6, v10, v7, -v45
	s_waitcnt vmcnt(19)
	v_mul_f32_e32 v7, v17, v35
	v_mul_f32_e32 v47, v11, v3
	;; [unrolled: 1-line block ×5, first 2 shown]
	v_fmac_f32_e32 v0, v13, v30
	v_mul_f32_e32 v9, v18, v35
	s_waitcnt vmcnt(17)
	v_mul_f32_e32 v13, v20, v44
	v_fma_f32 v10, v18, v34, -v7
	v_mul_f32_e32 v7, v19, v44
	v_fma_f32 v1, v14, v30, -v1
	v_fma_f32 v4, v16, v32, -v4
	v_fmac_f32_e32 v3, v15, v32
	v_fmac_f32_e32 v9, v17, v34
	;; [unrolled: 1-line block ×3, first 2 shown]
	v_fma_f32 v14, v20, v43, -v7
	v_fmac_f32_e32 v8, v11, v2
	ds_write_b64 v29, v[80:81]
	s_waitcnt vmcnt(11)
	v_mul_f32_e32 v11, v21, v50
	v_mul_f32_e32 v15, v22, v50
	s_waitcnt vmcnt(10)
	v_mul_f32_e32 v18, v23, v52
	v_mul_f32_e32 v17, v24, v52
	ds_write2_b64 v42, v[0:1], v[3:4] offset0:10 offset1:20
	ds_write2_b64 v42, v[9:10], v[13:14] offset0:30 offset1:40
	s_waitcnt vmcnt(9)
	v_mul_f32_e32 v1, v25, v54
	v_fma_f32 v16, v22, v49, -v11
	v_fmac_f32_e32 v15, v21, v49
	s_waitcnt vmcnt(8)
	v_mul_f32_e32 v4, v27, v37
	v_fma_f32 v18, v24, v51, -v18
	v_fmac_f32_e32 v17, v23, v51
	v_fma_f32 v20, v26, v53, -v1
	v_mul_f32_e32 v19, v26, v54
	s_waitcnt vmcnt(7)
	v_mul_f32_e32 v7, v59, v39
	v_fma_f32 v1, v28, v36, -v4
	v_mul_f32_e32 v0, v28, v37
	v_mul_f32_e32 v3, v60, v39
	ds_write2_b64 v42, v[15:16], v[17:18] offset0:50 offset1:60
	v_fma_f32 v4, v60, v38, -v7
	s_waitcnt vmcnt(6)
	v_mul_f32_e32 v7, v61, v41
	v_mul_f32_e32 v10, v62, v41
	v_fmac_f32_e32 v19, v25, v53
	v_fmac_f32_e32 v0, v27, v36
	s_waitcnt vmcnt(5)
	v_mul_f32_e32 v9, v63, v56
	v_mul_f32_e32 v13, v64, v56
	v_fma_f32 v11, v62, v40, -v7
	v_fmac_f32_e32 v3, v59, v38
	v_fmac_f32_e32 v10, v61, v40
	s_waitcnt vmcnt(4)
	v_mul_f32_e32 v15, v66, v58
	v_fma_f32 v14, v64, v55, -v9
	v_mul_f32_e32 v7, v65, v58
	s_waitcnt vmcnt(2)
	v_mul_f32_e32 v17, v73, v77
	v_mul_f32_e32 v9, v72, v77
	s_waitcnt vmcnt(0)
	v_mul_f32_e32 v21, v75, v79
	v_mul_f32_e32 v22, v74, v79
	v_fmac_f32_e32 v13, v63, v55
	v_fmac_f32_e32 v15, v65, v57
	v_fma_f32 v16, v66, v57, -v7
	v_fmac_f32_e32 v17, v72, v76
	v_fma_f32 v18, v73, v76, -v9
	v_fmac_f32_e32 v21, v74, v78
	v_fma_f32 v22, v75, v78, -v22
	v_fma_f32 v9, v12, v2, -v47
	ds_write2_b64 v42, v[19:20], v[5:6] offset0:70 offset1:80
	ds_write2_b64 v42, v[0:1], v[3:4] offset0:90 offset1:100
	;; [unrolled: 1-line block ×5, first 2 shown]
.LBB0_3:
	s_or_b32 exec_lo, exec_lo, s1
	s_load_dwordx2 s[0:1], s[4:5], 0x20
	v_mov_b32_e32 v12, 0
	v_mov_b32_e32 v13, 0
	s_waitcnt lgkmcnt(0)
	s_barrier
	buffer_gl0_inv
                                        ; implicit-def: $vgpr30
                                        ; implicit-def: $vgpr24
                                        ; implicit-def: $vgpr20
                                        ; implicit-def: $vgpr16
                                        ; implicit-def: $vgpr44
                                        ; implicit-def: $vgpr34
                                        ; implicit-def: $vgpr38
                                        ; implicit-def: $vgpr42
	s_and_saveexec_b32 s2, vcc_lo
	s_cbranch_execz .LBB0_5
; %bb.4:
	v_lshl_add_u32 v0, v46, 3, v68
	ds_read2_b64 v[12:15], v0 offset1:10
	ds_read2_b64 v[40:43], v0 offset0:20 offset1:30
	ds_read2_b64 v[36:39], v0 offset0:40 offset1:50
	;; [unrolled: 1-line block ×7, first 2 shown]
	ds_read_b64 v[44:45], v0 offset:1280
.LBB0_5:
	s_or_b32 exec_lo, exec_lo, s2
	s_waitcnt lgkmcnt(0)
	v_sub_f32_e32 v79, v15, v45
	v_add_f32_e32 v78, v44, v14
	v_sub_f32_e32 v82, v14, v44
	v_sub_f32_e32 v83, v41, v19
	v_add_f32_e32 v80, v45, v15
	v_mul_f32_e32 v86, 0xbeb8f4ab, v79
	v_add_f32_e32 v47, v18, v40
	v_sub_f32_e32 v85, v40, v18
	v_mul_f32_e32 v89, 0xbeb8f4ab, v82
	v_mul_f32_e32 v55, 0xbf2c7751, v83
	v_fmamk_f32 v0, v78, 0x3f6eb680, v86
	v_sub_f32_e32 v88, v43, v17
	v_add_f32_e32 v51, v19, v41
	v_mul_f32_e32 v56, 0xbf2c7751, v85
	v_fma_f32 v1, 0x3f6eb680, v80, -v89
	v_fmamk_f32 v2, v47, 0x3f3d2fb0, v55
	v_add_f32_e32 v0, v0, v12
	v_sub_f32_e32 v90, v42, v16
	v_add_f32_e32 v52, v16, v42
	v_mul_f32_e32 v60, 0xbf65296c, v88
	v_sub_f32_e32 v106, v37, v23
	v_fma_f32 v3, 0x3f3d2fb0, v51, -v56
	v_add_f32_e32 v1, v1, v13
	v_add_f32_e32 v0, v2, v0
	;; [unrolled: 1-line block ×3, first 2 shown]
	v_mul_f32_e32 v64, 0xbf65296c, v90
	v_fmamk_f32 v2, v52, 0x3ee437d1, v60
	v_add_f32_e32 v54, v22, v36
	v_mul_f32_e32 v63, 0xbf7ee86f, v106
	v_sub_f32_e32 v109, v36, v22
	v_sub_f32_e32 v110, v39, v21
	v_add_f32_e32 v1, v3, v1
	v_fma_f32 v3, 0x3ee437d1, v53, -v64
	v_add_f32_e32 v0, v2, v0
	v_fmamk_f32 v2, v54, 0x3dbcf732, v63
	v_add_f32_e32 v58, v23, v37
	v_mul_f32_e32 v74, 0xbf7ee86f, v109
	v_add_f32_e32 v57, v20, v38
	v_mul_f32_e32 v73, 0xbf763a35, v110
	v_sub_f32_e32 v111, v38, v20
	v_add_f32_e32 v1, v3, v1
	v_fma_f32 v3, 0x3dbcf732, v58, -v74
	v_add_f32_e32 v0, v2, v0
	v_fmamk_f32 v2, v57, 0xbe8c1d8e, v73
	v_add_f32_e32 v59, v21, v39
	v_mul_f32_e32 v75, 0xbf763a35, v111
	v_sub_f32_e32 v112, v33, v27
	v_add_f32_e32 v1, v3, v1
	v_add_f32_e32 v0, v2, v0
	v_sub_f32_e32 v113, v32, v26
	v_fma_f32 v2, 0xbe8c1d8e, v59, -v75
	v_add_f32_e32 v61, v26, v32
	v_mul_f32_e32 v81, 0xbf4c4adb, v112
	v_sub_f32_e32 v114, v35, v25
	v_add_f32_e32 v62, v27, v33
	v_mul_f32_e32 v84, 0xbf4c4adb, v113
	v_add_f32_e32 v1, v2, v1
	v_fmamk_f32 v2, v61, 0xbf1a4643, v81
	v_sub_f32_e32 v115, v34, v24
	v_add_f32_e32 v65, v24, v34
	v_mul_f32_e32 v87, 0xbf06c442, v114
	v_sub_f32_e32 v133, v29, v31
	v_fma_f32 v3, 0xbf1a4643, v62, -v84
	v_add_f32_e32 v66, v25, v35
	v_mul_f32_e32 v91, 0xbf06c442, v115
	v_add_f32_e32 v0, v2, v0
	v_fmamk_f32 v2, v65, 0xbf59a7d5, v87
	v_add_f32_e32 v76, v30, v28
	v_mul_f32_e32 v104, 0xbe3c28d5, v133
	v_add_f32_e32 v1, v3, v1
	v_fma_f32 v3, 0xbf59a7d5, v66, -v91
	v_add_f32_e32 v0, v2, v0
	v_mul_f32_e32 v146, 0xbf2c7751, v79
	v_fmamk_f32 v2, v76, 0xbf7ba420, v104
	v_mul_f32_e32 v147, 0xbf2c7751, v82
	v_add_f32_e32 v1, v3, v1
	v_mul_f32_e32 v92, 0xbf7ee86f, v83
	v_mul_f32_e32 v95, 0xbf7ee86f, v85
	v_add_f32_e32 v49, v2, v0
	v_fmamk_f32 v0, v78, 0x3f3d2fb0, v146
	v_fma_f32 v3, 0x3f3d2fb0, v80, -v147
	v_fmamk_f32 v4, v47, 0x3dbcf732, v92
	v_mul_f32_e32 v93, 0xbf4c4adb, v88
	v_fma_f32 v5, 0x3dbcf732, v51, -v95
	v_add_f32_e32 v0, v0, v12
	v_add_f32_e32 v3, v3, v13
	v_mul_f32_e32 v100, 0xbf4c4adb, v90
	v_mul_f32_e32 v94, 0xbe3c28d5, v106
	;; [unrolled: 1-line block ×3, first 2 shown]
	v_add_f32_e32 v0, v4, v0
	v_fmamk_f32 v4, v52, 0xbf1a4643, v93
	v_add_f32_e32 v3, v5, v3
	v_fma_f32 v5, 0xbf1a4643, v53, -v100
	v_sub_f32_e32 v139, v28, v30
	v_mul_f32_e32 v96, 0x3f06c442, v110
	v_add_f32_e32 v0, v4, v0
	v_fmamk_f32 v4, v54, 0xbf7ba420, v94
	v_add_f32_e32 v3, v5, v3
	v_fma_f32 v5, 0xbf7ba420, v58, -v101
	v_mul_f32_e32 v102, 0x3f06c442, v111
	v_add_f32_e32 v77, v31, v29
	v_mul_f32_e32 v108, 0xbe3c28d5, v139
	v_add_f32_e32 v0, v4, v0
	v_fmamk_f32 v4, v57, 0xbf59a7d5, v96
	v_mul_f32_e32 v98, 0x3f763a35, v112
	v_add_f32_e32 v3, v5, v3
	v_fma_f32 v5, 0xbf59a7d5, v59, -v102
	v_mul_f32_e32 v105, 0x3f763a35, v113
	v_fma_f32 v2, 0xbf7ba420, v77, -v108
	v_add_f32_e32 v0, v4, v0
	v_fmamk_f32 v4, v61, 0xbe8c1d8e, v98
	v_mul_f32_e32 v97, 0x3f65296c, v114
	v_add_f32_e32 v3, v5, v3
	v_fma_f32 v5, 0xbe8c1d8e, v62, -v105
	v_mul_f32_e32 v107, 0x3f65296c, v115
	v_add_f32_e32 v0, v4, v0
	v_fmamk_f32 v4, v65, 0x3ee437d1, v97
	v_add_f32_e32 v50, v2, v1
	v_add_f32_e32 v1, v5, v3
	v_fma_f32 v2, 0x3ee437d1, v66, -v107
	v_mul_f32_e32 v152, 0xbf65296c, v79
	v_mul_f32_e32 v99, 0x3eb8f4ab, v133
	v_add_f32_e32 v0, v4, v0
	v_mul_f32_e32 v116, 0xbf4c4adb, v83
	v_add_f32_e32 v1, v2, v1
	v_fmamk_f32 v2, v78, 0x3ee437d1, v152
	v_fmamk_f32 v3, v76, 0x3f6eb680, v99
	v_mul_f32_e32 v158, 0xbf65296c, v82
	v_fmamk_f32 v6, v47, 0xbf1a4643, v116
	v_mul_f32_e32 v122, 0x3e3c28d5, v88
	v_add_f32_e32 v5, v2, v12
	v_add_f32_e32 v2, v3, v0
	v_fma_f32 v0, 0x3ee437d1, v80, -v158
	v_mul_f32_e32 v134, 0xbf4c4adb, v85
	v_mul_f32_e32 v125, 0x3f763a35, v106
	v_add_f32_e32 v3, v6, v5
	v_fmamk_f32 v5, v52, 0xbf7ba420, v122
	v_add_f32_e32 v0, v0, v13
	v_fma_f32 v6, 0xbf1a4643, v51, -v134
	v_mul_f32_e32 v136, 0x3e3c28d5, v90
	v_mul_f32_e32 v126, 0x3f2c7751, v110
	v_add_f32_e32 v3, v5, v3
	v_fmamk_f32 v5, v54, 0xbe8c1d8e, v125
	;; [unrolled: 6-line block ×4, first 2 shown]
	v_mul_f32_e32 v130, 0xbf7ee86f, v114
	v_add_f32_e32 v0, v6, v0
	v_fma_f32 v6, 0x3f3d2fb0, v59, -v142
	v_mul_f32_e32 v140, 0xbeb8f4ab, v113
	v_fma_f32 v4, 0x3f6eb680, v77, -v103
	v_add_f32_e32 v3, v5, v3
	v_fmamk_f32 v5, v65, 0x3dbcf732, v130
	v_add_f32_e32 v0, v6, v0
	v_fma_f32 v6, 0x3f6eb680, v62, -v140
	v_mul_f32_e32 v138, 0xbf7ee86f, v115
	v_mul_f32_e32 v131, 0xbf06c442, v133
	v_add_f32_e32 v5, v5, v3
	v_add_f32_e32 v3, v4, v1
	;; [unrolled: 1-line block ×3, first 2 shown]
	v_fma_f32 v4, 0x3dbcf732, v66, -v138
	v_mul_f32_e32 v164, 0xbf7ee86f, v79
	v_fmamk_f32 v7, v76, 0xbf59a7d5, v131
	v_mul_f32_e32 v165, 0xbf7ee86f, v82
	v_mul_f32_e32 v117, 0xbe3c28d5, v83
	v_add_f32_e32 v1, v4, v1
	v_fmamk_f32 v4, v78, 0x3dbcf732, v164
	v_add_f32_e32 v0, v7, v5
	v_fma_f32 v6, 0x3dbcf732, v80, -v165
	v_mul_f32_e32 v120, 0xbe3c28d5, v85
	v_fmamk_f32 v7, v47, 0xbf7ba420, v117
	v_add_f32_e32 v4, v4, v12
	v_mul_f32_e32 v118, 0x3f763a35, v88
	v_add_f32_e32 v6, v6, v13
	v_fma_f32 v8, 0xbf7ba420, v51, -v120
	v_mul_f32_e32 v124, 0x3f763a35, v90
	v_add_f32_e32 v4, v7, v4
	v_fmamk_f32 v7, v52, 0xbe8c1d8e, v118
	v_mul_f32_e32 v119, 0x3eb8f4ab, v106
	v_mul_f32_e32 v144, 0xbf06c442, v139
	v_add_f32_e32 v6, v8, v6
	v_fma_f32 v8, 0xbe8c1d8e, v53, -v124
	v_mul_f32_e32 v129, 0x3eb8f4ab, v109
	v_add_f32_e32 v4, v7, v4
	v_fmamk_f32 v7, v54, 0x3f6eb680, v119
	v_mul_f32_e32 v121, 0xbf65296c, v110
	v_fma_f32 v5, 0xbf59a7d5, v77, -v144
	v_add_f32_e32 v6, v8, v6
	v_fma_f32 v8, 0x3f6eb680, v58, -v129
	v_mul_f32_e32 v132, 0xbf65296c, v111
	v_add_f32_e32 v4, v7, v4
	v_fmamk_f32 v7, v57, 0x3ee437d1, v121
	v_mul_f32_e32 v123, 0xbf06c442, v112
	v_add_f32_e32 v6, v8, v6
	v_fma_f32 v8, 0x3ee437d1, v59, -v132
	v_add_f32_e32 v1, v5, v1
	v_add_f32_e32 v4, v7, v4
	v_fmamk_f32 v5, v61, 0xbf59a7d5, v123
	v_mul_f32_e32 v135, 0xbf06c442, v113
	v_mul_f32_e32 v128, 0x3f4c4adb, v114
	;; [unrolled: 1-line block ×3, first 2 shown]
	v_add_f32_e32 v6, v8, v6
	v_add_f32_e32 v4, v5, v4
	v_fma_f32 v5, 0xbf59a7d5, v62, -v135
	v_mul_f32_e32 v143, 0x3f4c4adb, v115
	v_fmamk_f32 v7, v65, 0xbf1a4643, v128
	v_fmamk_f32 v8, v78, 0xbe8c1d8e, v178
	v_mul_f32_e32 v148, 0x3f06c442, v83
	v_add_f32_e32 v5, v5, v6
	v_fma_f32 v6, 0xbf1a4643, v66, -v143
	v_add_f32_e32 v4, v7, v4
	v_add_f32_e32 v7, v8, v12
	v_fmamk_f32 v8, v47, 0xbf59a7d5, v148
	v_mul_f32_e32 v149, 0x3f2c7751, v88
	v_mul_f32_e32 v141, 0x3f2c7751, v133
	v_add_f32_e32 v5, v6, v5
	v_mul_f32_e32 v150, 0xbf65296c, v106
	v_add_f32_e32 v6, v8, v7
	v_fmamk_f32 v7, v52, 0x3f3d2fb0, v149
	v_fmamk_f32 v8, v76, 0x3f3d2fb0, v141
	v_mul_f32_e32 v180, 0xbf763a35, v82
	v_fmamk_f32 v10, v54, 0x3ee437d1, v150
	v_mul_f32_e32 v151, 0xbe3c28d5, v110
	v_add_f32_e32 v7, v7, v6
	v_add_f32_e32 v6, v8, v4
	v_fma_f32 v4, 0xbe8c1d8e, v80, -v180
	v_mul_f32_e32 v156, 0x3f06c442, v85
	v_fmamk_f32 v8, v57, 0xbf7ba420, v151
	v_add_f32_e32 v7, v10, v7
	v_mul_f32_e32 v153, 0x3f7ee86f, v112
	v_add_f32_e32 v4, v4, v13
	v_fma_f32 v10, 0xbf59a7d5, v51, -v156
	v_mul_f32_e32 v157, 0x3f2c7751, v90
	v_mul_f32_e32 v145, 0x3f2c7751, v139
	v_add_f32_e32 v7, v8, v7
	v_fmamk_f32 v8, v61, 0x3dbcf732, v153
	v_mul_f32_e32 v154, 0xbeb8f4ab, v114
	v_add_f32_e32 v4, v10, v4
	v_fma_f32 v10, 0x3f3d2fb0, v53, -v157
	v_mul_f32_e32 v159, 0xbf65296c, v109
	v_fma_f32 v9, 0x3f3d2fb0, v77, -v145
	v_add_f32_e32 v8, v8, v7
	v_fmamk_f32 v11, v65, 0x3f6eb680, v154
	v_mul_f32_e32 v155, 0xbf4c4adb, v133
	v_add_f32_e32 v4, v10, v4
	v_fma_f32 v10, 0x3ee437d1, v58, -v159
	v_mul_f32_e32 v160, 0xbe3c28d5, v111
	v_add_f32_e32 v7, v9, v5
	v_add_f32_e32 v5, v11, v8
	v_fmamk_f32 v8, v76, 0xbf1a4643, v155
	v_add_f32_e32 v9, v10, v4
	v_fma_f32 v10, 0xbf7ba420, v59, -v160
	v_mul_f32_e32 v161, 0x3f7ee86f, v113
	v_mul_f32_e32 v187, 0xbf4c4adb, v79
	;; [unrolled: 1-line block ×3, first 2 shown]
	v_add_f32_e32 v4, v8, v5
	v_add_f32_e32 v5, v10, v9
	v_fma_f32 v8, 0x3dbcf732, v62, -v161
	v_fmamk_f32 v9, v78, 0xbf1a4643, v187
	v_mul_f32_e32 v166, 0x3f763a35, v83
	v_fma_f32 v10, 0xbf1a4643, v80, -v189
	v_mul_f32_e32 v169, 0x3f763a35, v85
	v_add_f32_e32 v5, v8, v5
	v_add_f32_e32 v8, v9, v12
	v_fmamk_f32 v9, v47, 0xbe8c1d8e, v166
	v_add_f32_e32 v10, v10, v13
	v_fma_f32 v11, 0xbe8c1d8e, v51, -v169
	v_mul_f32_e32 v167, 0xbeb8f4ab, v88
	v_mul_f32_e32 v171, 0xbeb8f4ab, v90
	v_add_f32_e32 v8, v9, v8
	v_mul_f32_e32 v168, 0xbf06c442, v106
	v_add_f32_e32 v9, v11, v10
	v_fmamk_f32 v10, v52, 0x3f6eb680, v167
	v_fma_f32 v11, 0x3f6eb680, v53, -v171
	v_mul_f32_e32 v173, 0xbf06c442, v109
	v_mul_f32_e32 v170, 0x3f7ee86f, v110
	v_mul_f32_e32 v175, 0x3f7ee86f, v111
	v_add_f32_e32 v8, v10, v8
	v_add_f32_e32 v9, v11, v9
	v_fmamk_f32 v10, v54, 0xbf59a7d5, v168
	v_fma_f32 v11, 0xbf59a7d5, v58, -v173
	v_mul_f32_e32 v172, 0xbf2c7751, v112
	v_mul_f32_e32 v176, 0xbf2c7751, v113
	v_mul_f32_e32 v174, 0xbe3c28d5, v114
	v_add_f32_e32 v8, v10, v8
	;; [unrolled: 7-line block ×3, first 2 shown]
	v_fmamk_f32 v10, v61, 0x3f3d2fb0, v172
	v_add_f32_e32 v9, v11, v9
	v_fma_f32 v11, 0x3f3d2fb0, v62, -v176
	v_fmamk_f32 v179, v78, 0xbf59a7d5, v198
	v_mul_f32_e32 v199, 0xbf06c442, v82
	v_add_f32_e32 v8, v10, v8
	v_fmamk_f32 v10, v65, 0xbf7ba420, v174
	v_add_f32_e32 v9, v11, v9
	v_fma_f32 v11, 0xbf7ba420, v66, -v177
	v_mul_f32_e32 v183, 0xbf7ee86f, v88
	v_fma_f32 v181, 0xbf59a7d5, v80, -v199
	v_add_f32_e32 v8, v10, v8
	v_add_f32_e32 v10, v179, v12
	;; [unrolled: 1-line block ×3, first 2 shown]
	v_fmamk_f32 v11, v47, 0x3ee437d1, v182
	v_mul_f32_e32 v190, 0x3f65296c, v85
	v_mul_f32_e32 v184, 0x3f4c4adb, v106
	v_add_f32_e32 v181, v181, v13
	v_mul_f32_e32 v191, 0xbf7ee86f, v90
	v_add_f32_e32 v10, v11, v10
	v_fmamk_f32 v11, v52, 0x3dbcf732, v183
	v_fma_f32 v186, 0x3ee437d1, v51, -v190
	v_mul_f32_e32 v185, 0xbeb8f4ab, v110
	v_fma_f32 v188, 0x3dbcf732, v53, -v191
	v_mul_f32_e32 v193, 0x3f4c4adb, v109
	v_add_f32_e32 v10, v11, v10
	v_fmamk_f32 v11, v54, 0xbf1a4643, v184
	v_add_f32_e32 v181, v186, v181
	v_mul_f32_e32 v186, 0xbe3c28d5, v112
	v_fma_f32 v192, 0xbf1a4643, v58, -v193
	v_mul_f32_e32 v195, 0xbeb8f4ab, v111
	v_add_f32_e32 v10, v11, v10
	v_fmamk_f32 v11, v57, 0x3f6eb680, v185
	v_add_f32_e32 v188, v188, v181
	;; [unrolled: 6-line block ×3, first 2 shown]
	v_mul_f32_e32 v188, 0x3f2c7751, v114
	v_fma_f32 v197, 0xbf7ba420, v62, -v196
	s_load_dwordx2 s[2:3], s[4:5], 0x8
	v_add_f32_e32 v10, v11, v10
	v_add_f32_e32 v11, v194, v192
	v_mul_f32_e32 v194, 0x3f2c7751, v115
	v_fma_f32 v72, 0x3f6eb680, v66, -v162
	v_mul_f32_e32 v163, 0xbf4c4adb, v139
	v_mul_f32_e32 v179, 0x3f65296c, v133
	;; [unrolled: 1-line block ×3, first 2 shown]
	v_fmamk_f32 v201, v65, 0x3f3d2fb0, v188
	v_mul_f32_e32 v192, 0xbf763a35, v133
	v_add_f32_e32 v11, v197, v11
	v_fma_f32 v202, 0x3f3d2fb0, v66, -v194
	v_mul_f32_e32 v197, 0xbf763a35, v139
	v_add_f32_e32 v5, v72, v5
	v_fma_f32 v72, 0xbf1a4643, v77, -v163
	v_fmamk_f32 v200, v76, 0x3ee437d1, v179
	v_fma_f32 v203, 0x3ee437d1, v77, -v181
	v_add_f32_e32 v201, v201, v10
	v_fmamk_f32 v204, v76, 0xbe8c1d8e, v192
	v_add_f32_e32 v202, v202, v11
	v_fma_f32 v205, 0xbe8c1d8e, v77, -v197
	v_add_f32_e32 v5, v72, v5
	v_add_f32_e32 v10, v200, v8
	;; [unrolled: 1-line block ×5, first 2 shown]
	v_mul_lo_u16 v72, v70, 17
	s_waitcnt lgkmcnt(0)
	s_barrier
	buffer_gl0_inv
	s_and_saveexec_b32 s4, vcc_lo
	s_cbranch_execz .LBB0_7
; %bb.6:
	v_add_f32_e32 v15, v15, v13
	v_add_f32_e32 v14, v14, v12
	;; [unrolled: 1-line block ×4, first 2 shown]
	v_mul_f32_e32 v40, 0x3eb8f4ab, v85
	v_mul_f32_e32 v41, 0xbf06c442, v88
	;; [unrolled: 1-line block ×3, first 2 shown]
	v_add_f32_e32 v15, v43, v15
	v_add_f32_e32 v14, v42, v14
	v_mul_f32_e32 v42, 0x3f2c7751, v109
	v_mul_f32_e32 v43, 0x3f2c7751, v106
	;; [unrolled: 1-line block ×3, first 2 shown]
	v_add_f32_e32 v15, v37, v15
	v_add_f32_e32 v14, v36, v14
	v_mul_f32_e32 v36, 0xbe3c28d5, v79
	v_mul_f32_e32 v79, 0xbf4c4adb, v110
	v_add_f32_e32 v15, v39, v15
	v_add_f32_e32 v14, v38, v14
	v_fma_f32 v37, 0xbf7ba420, v78, -v36
	v_fmac_f32_e32 v36, 0xbf7ba420, v78
	v_add_f32_e32 v15, v33, v15
	v_add_f32_e32 v14, v32, v14
	v_mul_f32_e32 v33, 0x3f6eb680, v78
	v_mul_f32_e32 v32, 0x3f6eb680, v80
	v_add_f32_e32 v37, v37, v12
	v_add_f32_e32 v15, v35, v15
	;; [unrolled: 1-line block ×3, first 2 shown]
	v_sub_f32_e32 v33, v33, v86
	v_mul_f32_e32 v34, 0xbe3c28d5, v82
	v_add_f32_e32 v36, v36, v12
	v_add_f32_e32 v15, v29, v15
	;; [unrolled: 1-line block ×3, first 2 shown]
	v_mul_f32_e32 v29, 0x3ee437d1, v78
	v_mul_f32_e32 v28, 0x3ee437d1, v80
	v_fmamk_f32 v35, v80, 0xbf7ba420, v34
	v_add_f32_e32 v15, v31, v15
	v_add_f32_e32 v14, v30, v14
	v_mul_f32_e32 v31, 0x3f3d2fb0, v78
	v_sub_f32_e32 v29, v29, v152
	v_mul_f32_e32 v30, 0x3f3d2fb0, v80
	v_add_f32_e32 v15, v25, v15
	v_add_f32_e32 v14, v24, v14
	v_mul_f32_e32 v25, 0xbe8c1d8e, v78
	v_sub_f32_e32 v31, v31, v146
	v_mul_f32_e32 v24, 0xbe8c1d8e, v80
	;; [unrolled: 5-line block ×3, first 2 shown]
	v_add_f32_e32 v15, v21, v15
	v_mul_f32_e32 v21, 0xbf59a7d5, v78
	v_add_f32_e32 v14, v20, v14
	v_sub_f32_e32 v27, v27, v164
	v_mul_f32_e32 v20, 0xbf59a7d5, v80
	v_add_f32_e32 v15, v23, v15
	v_mul_f32_e32 v23, 0xbf1a4643, v78
	v_sub_f32_e32 v21, v21, v198
	v_add_f32_e32 v14, v22, v14
	v_mul_f32_e32 v22, 0xbf1a4643, v80
	v_add_f32_e32 v25, v25, v12
	v_sub_f32_e32 v23, v23, v187
	v_add_f32_e32 v21, v21, v12
	v_add_f32_e32 v27, v27, v12
	;; [unrolled: 1-line block ×14, first 2 shown]
	v_fma_f32 v34, 0xbf7ba420, v80, -v34
	v_add_f32_e32 v35, v35, v13
	v_add_f32_e32 v38, v19, v12
	v_fmamk_f32 v12, v51, 0x3f6eb680, v40
	v_add_f32_e32 v20, v20, v13
	v_add_f32_e32 v22, v22, v13
	;; [unrolled: 1-line block ×10, first 2 shown]
	v_mul_f32_e32 v35, 0x3eb8f4ab, v83
	v_mul_f32_e32 v78, 0xbf4c4adb, v111
	;; [unrolled: 1-line block ×3, first 2 shown]
	v_add_f32_e32 v39, v18, v13
	v_mul_f32_e32 v82, 0x3f65296c, v112
	v_fma_f32 v13, 0x3f6eb680, v47, -v35
	v_mul_f32_e32 v83, 0xbf763a35, v115
	v_mul_f32_e32 v86, 0x3f7ee86f, v139
	;; [unrolled: 1-line block ×4, first 2 shown]
	v_add_f32_e32 v13, v13, v37
	v_mul_f32_e32 v37, 0xbf06c442, v90
	v_mul_f32_e32 v17, 0x3dbcf732, v52
	v_add_f32_e32 v15, v191, v15
	v_sub_f32_e32 v16, v16, v182
	v_mul_f32_e32 v19, 0x3f3d2fb0, v62
	v_fmamk_f32 v14, v53, 0xbf59a7d5, v37
	v_sub_f32_e32 v17, v17, v183
	v_fmac_f32_e32 v35, 0x3f6eb680, v47
	v_add_f32_e32 v16, v16, v21
	v_add_f32_e32 v19, v176, v19
	;; [unrolled: 1-line block ×3, first 2 shown]
	v_fma_f32 v14, 0xbf59a7d5, v52, -v41
	v_mul_f32_e32 v21, 0x3f3d2fb0, v52
	v_add_f32_e32 v16, v17, v16
	v_mul_f32_e32 v17, 0xbf1a4643, v54
	v_fmac_f32_e32 v41, 0xbf59a7d5, v52
	v_add_f32_e32 v13, v14, v13
	v_fmamk_f32 v14, v58, 0x3f3d2fb0, v42
	v_sub_f32_e32 v21, v21, v149
	v_sub_f32_e32 v17, v17, v184
	v_add_f32_e32 v12, v14, v12
	v_fma_f32 v14, 0x3f3d2fb0, v54, -v43
	v_fmac_f32_e32 v43, 0x3f3d2fb0, v54
	v_add_f32_e32 v13, v14, v13
	v_fmamk_f32 v14, v59, 0xbf1a4643, v78
	v_add_f32_e32 v12, v14, v12
	v_fma_f32 v14, 0xbf1a4643, v57, -v79
	v_fmac_f32_e32 v79, 0xbf1a4643, v57
	v_add_f32_e32 v13, v14, v13
	v_fmamk_f32 v14, v62, 0x3ee437d1, v80
	;; [unrolled: 5-line block ×4, first 2 shown]
	v_add_f32_e32 v13, v13, v12
	v_fma_f32 v12, 0x3dbcf732, v76, -v88
	v_fmac_f32_e32 v88, 0x3dbcf732, v76
	v_add_f32_e32 v12, v12, v14
	v_mul_f32_e32 v14, 0x3ee437d1, v51
	v_add_f32_e32 v14, v190, v14
	v_add_f32_e32 v14, v14, v20
	v_add_f32_e32 v14, v15, v14
	v_mul_f32_e32 v15, 0xbf1a4643, v58
	v_add_f32_e32 v15, v193, v15
	v_add_f32_e32 v14, v15, v14
	v_mul_f32_e32 v15, 0x3f6eb680, v59
	v_add_f32_e32 v15, v195, v15
	v_add_f32_e32 v14, v15, v14
	;; [unrolled: 3-line block ×3, first 2 shown]
	v_add_f32_e32 v15, v17, v16
	v_mul_f32_e32 v16, 0x3f6eb680, v57
	v_mul_f32_e32 v17, 0x3f3d2fb0, v66
	v_sub_f32_e32 v16, v16, v185
	v_add_f32_e32 v17, v194, v17
	v_add_f32_e32 v15, v16, v15
	v_mul_f32_e32 v16, 0xbf7ba420, v61
	v_add_f32_e32 v14, v17, v14
	v_mul_f32_e32 v17, 0xbe8c1d8e, v77
	v_sub_f32_e32 v16, v16, v186
	v_add_f32_e32 v17, v197, v17
	v_add_f32_e32 v15, v16, v15
	v_mul_f32_e32 v16, 0x3f3d2fb0, v65
	v_sub_f32_e32 v16, v16, v188
	v_add_f32_e32 v16, v16, v15
	v_mul_f32_e32 v15, 0xbe8c1d8e, v76
	v_sub_f32_e32 v18, v15, v192
	v_add_f32_e32 v15, v17, v14
	v_mul_f32_e32 v17, 0x3f6eb680, v53
	v_add_f32_e32 v14, v18, v16
	v_mul_f32_e32 v16, 0xbe8c1d8e, v51
	;; [unrolled: 2-line block ×3, first 2 shown]
	v_add_f32_e32 v16, v169, v16
	v_sub_f32_e32 v18, v18, v166
	v_add_f32_e32 v16, v16, v22
	v_add_f32_e32 v16, v17, v16
	v_mul_f32_e32 v17, 0xbf59a7d5, v58
	v_add_f32_e32 v17, v173, v17
	v_add_f32_e32 v16, v17, v16
	v_mul_f32_e32 v17, 0x3dbcf732, v59
	v_add_f32_e32 v17, v175, v17
	v_add_f32_e32 v16, v17, v16
	;; [unrolled: 1-line block ×3, first 2 shown]
	v_mul_f32_e32 v18, 0x3f6eb680, v52
	v_mul_f32_e32 v23, 0x3f6eb680, v62
	v_add_f32_e32 v16, v19, v16
	v_mul_f32_e32 v19, 0xbf7ba420, v66
	v_sub_f32_e32 v18, v18, v167
	v_add_f32_e32 v23, v140, v23
	v_add_f32_e32 v19, v177, v19
	;; [unrolled: 1-line block ×3, first 2 shown]
	v_mul_f32_e32 v18, 0xbf59a7d5, v54
	v_add_f32_e32 v16, v19, v16
	v_mul_f32_e32 v19, 0x3ee437d1, v77
	v_sub_f32_e32 v18, v18, v168
	v_add_f32_e32 v19, v181, v19
	v_add_f32_e32 v17, v18, v17
	v_mul_f32_e32 v18, 0x3dbcf732, v57
	v_sub_f32_e32 v18, v18, v170
	v_add_f32_e32 v17, v18, v17
	v_mul_f32_e32 v18, 0x3f3d2fb0, v61
	v_sub_f32_e32 v18, v18, v172
	;; [unrolled: 3-line block ×4, first 2 shown]
	v_add_f32_e32 v17, v19, v16
	v_mul_f32_e32 v19, 0x3f3d2fb0, v53
	v_add_f32_e32 v16, v20, v18
	v_mul_f32_e32 v18, 0xbf59a7d5, v51
	;; [unrolled: 2-line block ×3, first 2 shown]
	v_add_f32_e32 v18, v156, v18
	v_sub_f32_e32 v20, v20, v148
	v_add_f32_e32 v18, v18, v24
	v_add_f32_e32 v20, v20, v25
	v_mul_f32_e32 v25, 0x3ee437d1, v52
	v_add_f32_e32 v18, v19, v18
	v_mul_f32_e32 v19, 0x3ee437d1, v58
	;; [unrolled: 2-line block ×3, first 2 shown]
	v_sub_f32_e32 v25, v25, v60
	v_add_f32_e32 v19, v159, v19
	v_sub_f32_e32 v21, v21, v150
	v_add_f32_e32 v18, v19, v18
	v_mul_f32_e32 v19, 0xbf7ba420, v59
	v_add_f32_e32 v19, v160, v19
	v_add_f32_e32 v18, v19, v18
	v_mul_f32_e32 v19, 0x3dbcf732, v62
	v_add_f32_e32 v19, v161, v19
	v_add_f32_e32 v18, v19, v18
	;; [unrolled: 1-line block ×3, first 2 shown]
	v_mul_f32_e32 v20, 0xbf7ba420, v57
	v_mul_f32_e32 v21, 0x3f6eb680, v66
	v_sub_f32_e32 v20, v20, v151
	v_add_f32_e32 v21, v162, v21
	v_add_f32_e32 v19, v20, v19
	v_mul_f32_e32 v20, 0x3dbcf732, v61
	v_add_f32_e32 v18, v21, v18
	v_mul_f32_e32 v21, 0xbf1a4643, v77
	v_sub_f32_e32 v20, v20, v153
	v_add_f32_e32 v21, v163, v21
	v_add_f32_e32 v19, v20, v19
	v_mul_f32_e32 v20, 0x3f6eb680, v65
	v_sub_f32_e32 v20, v20, v154
	v_add_f32_e32 v20, v20, v19
	v_mul_f32_e32 v19, 0xbf1a4643, v76
	v_sub_f32_e32 v22, v19, v155
	v_add_f32_e32 v19, v21, v18
	v_mul_f32_e32 v21, 0xbf7ba420, v53
	v_add_f32_e32 v18, v22, v20
	v_mul_f32_e32 v20, 0xbf1a4643, v51
	;; [unrolled: 2-line block ×3, first 2 shown]
	v_add_f32_e32 v20, v134, v20
	v_sub_f32_e32 v22, v22, v116
	v_add_f32_e32 v20, v20, v28
	v_add_f32_e32 v20, v21, v20
	v_mul_f32_e32 v21, 0xbe8c1d8e, v58
	v_add_f32_e32 v21, v137, v21
	v_add_f32_e32 v20, v21, v20
	v_mul_f32_e32 v21, 0x3f3d2fb0, v59
	v_add_f32_e32 v21, v142, v21
	v_add_f32_e32 v20, v21, v20
	;; [unrolled: 1-line block ×3, first 2 shown]
	v_mul_f32_e32 v22, 0xbf7ba420, v52
	v_mul_f32_e32 v29, 0xbf1a4643, v52
	v_add_f32_e32 v20, v23, v20
	v_mul_f32_e32 v23, 0x3dbcf732, v66
	v_sub_f32_e32 v22, v22, v122
	v_sub_f32_e32 v29, v29, v93
	v_add_f32_e32 v23, v138, v23
	v_add_f32_e32 v21, v22, v21
	v_mul_f32_e32 v22, 0xbe8c1d8e, v54
	v_add_f32_e32 v20, v23, v20
	v_mul_f32_e32 v23, 0xbf59a7d5, v77
	v_sub_f32_e32 v22, v22, v125
	v_add_f32_e32 v23, v144, v23
	v_add_f32_e32 v21, v22, v21
	v_mul_f32_e32 v22, 0x3f3d2fb0, v57
	v_sub_f32_e32 v22, v22, v126
	v_add_f32_e32 v21, v22, v21
	v_mul_f32_e32 v22, 0x3f6eb680, v61
	v_sub_f32_e32 v22, v22, v127
	;; [unrolled: 3-line block ×4, first 2 shown]
	v_add_f32_e32 v21, v23, v20
	v_mul_f32_e32 v23, 0x3f3d2fb0, v47
	v_add_f32_e32 v20, v24, v22
	v_mul_f32_e32 v22, 0x3f3d2fb0, v51
	v_mul_f32_e32 v24, 0x3ee437d1, v53
	v_sub_f32_e32 v23, v23, v55
	v_add_f32_e32 v22, v56, v22
	v_add_f32_e32 v24, v64, v24
	;; [unrolled: 1-line block ×5, first 2 shown]
	v_mul_f32_e32 v25, 0x3dbcf732, v54
	v_add_f32_e32 v22, v24, v22
	v_mul_f32_e32 v24, 0x3dbcf732, v58
	v_sub_f32_e32 v25, v25, v63
	v_add_f32_e32 v24, v74, v24
	v_add_f32_e32 v23, v25, v23
	v_mul_f32_e32 v25, 0xbe8c1d8e, v57
	v_add_f32_e32 v22, v24, v22
	v_mul_f32_e32 v24, 0xbe8c1d8e, v59
	v_sub_f32_e32 v25, v25, v73
	v_add_f32_e32 v24, v75, v24
	v_add_f32_e32 v23, v25, v23
	;; [unrolled: 6-line block ×5, first 2 shown]
	v_mul_f32_e32 v24, 0xbf7ba420, v51
	v_add_f32_e32 v22, v28, v25
	v_mul_f32_e32 v25, 0xbe8c1d8e, v53
	v_mul_f32_e32 v28, 0x3dbcf732, v47
	v_add_f32_e32 v24, v120, v24
	v_add_f32_e32 v25, v124, v25
	v_sub_f32_e32 v28, v28, v92
	v_add_f32_e32 v24, v24, v26
	v_mul_f32_e32 v26, 0xbf7ba420, v47
	v_add_f32_e32 v28, v28, v31
	v_fma_f32 v31, 0xbf59a7d5, v53, -v37
	v_add_f32_e32 v24, v25, v24
	v_mul_f32_e32 v25, 0x3f6eb680, v58
	v_sub_f32_e32 v26, v26, v117
	v_add_f32_e32 v28, v29, v28
	v_mul_f32_e32 v29, 0xbf7ba420, v54
	v_add_f32_e32 v25, v129, v25
	v_sub_f32_e32 v29, v29, v94
	v_add_f32_e32 v24, v25, v24
	v_mul_f32_e32 v25, 0x3ee437d1, v59
	v_add_f32_e32 v28, v29, v28
	v_mul_f32_e32 v29, 0xbf59a7d5, v57
	v_add_f32_e32 v25, v132, v25
	v_sub_f32_e32 v29, v29, v96
	v_add_f32_e32 v24, v25, v24
	v_add_f32_e32 v25, v26, v27
	v_mul_f32_e32 v26, 0xbe8c1d8e, v52
	v_mul_f32_e32 v27, 0xbf59a7d5, v62
	v_add_f32_e32 v28, v29, v28
	v_fma_f32 v29, 0x3f6eb680, v51, -v40
	v_sub_f32_e32 v26, v26, v118
	v_add_f32_e32 v27, v135, v27
	v_add_f32_e32 v29, v29, v34
	;; [unrolled: 1-line block ×4, first 2 shown]
	v_mul_f32_e32 v26, 0x3f6eb680, v54
	v_add_f32_e32 v24, v27, v24
	v_mul_f32_e32 v27, 0xbf1a4643, v66
	v_fma_f32 v35, 0x3ee437d1, v62, -v80
	v_fma_f32 v36, 0x3dbcf732, v77, -v86
	v_sub_f32_e32 v26, v26, v119
	v_add_f32_e32 v27, v143, v27
	v_add_f32_e32 v25, v26, v25
	v_mul_f32_e32 v26, 0x3ee437d1, v57
	v_add_f32_e32 v24, v27, v24
	v_mul_f32_e32 v27, 0x3f3d2fb0, v77
	v_sub_f32_e32 v26, v26, v121
	v_add_f32_e32 v27, v145, v27
	v_add_f32_e32 v25, v26, v25
	v_mul_f32_e32 v26, 0xbf59a7d5, v61
	v_sub_f32_e32 v26, v26, v123
	v_add_f32_e32 v25, v26, v25
	v_mul_f32_e32 v26, 0xbf1a4643, v65
	v_sub_f32_e32 v26, v26, v128
	v_add_f32_e32 v32, v26, v25
	v_mul_f32_e32 v25, 0x3dbcf732, v51
	v_mul_f32_e32 v26, 0x3f3d2fb0, v76
	v_add_f32_e32 v25, v95, v25
	v_sub_f32_e32 v33, v26, v141
	v_mul_f32_e32 v26, 0xbf1a4643, v53
	v_add_f32_e32 v25, v25, v30
	v_mul_f32_e32 v30, 0xbe8c1d8e, v61
	v_add_f32_e32 v26, v100, v26
	v_sub_f32_e32 v30, v30, v98
	v_add_f32_e32 v25, v26, v25
	v_mul_f32_e32 v26, 0xbf7ba420, v58
	v_add_f32_e32 v26, v101, v26
	v_add_f32_e32 v25, v26, v25
	v_mul_f32_e32 v26, 0xbf59a7d5, v59
	v_add_f32_e32 v26, v102, v26
	;; [unrolled: 3-line block ×4, first 2 shown]
	v_add_f32_e32 v26, v26, v25
	v_add_f32_e32 v25, v30, v28
	v_add_f32_e32 v28, v31, v29
	v_fma_f32 v29, 0x3f3d2fb0, v58, -v42
	v_add_f32_e32 v30, v41, v34
	v_mul_f32_e32 v31, 0x3ee437d1, v65
	v_mul_f32_e32 v34, 0x3f6eb680, v77
	v_add_f32_e32 v28, v29, v28
	v_fma_f32 v29, 0xbf1a4643, v59, -v78
	v_add_f32_e32 v30, v43, v30
	v_sub_f32_e32 v31, v31, v97
	v_add_f32_e32 v34, v103, v34
	v_add_f32_e32 v28, v29, v28
	;; [unrolled: 1-line block ×3, first 2 shown]
	v_mul_f32_e32 v29, 0x3f6eb680, v76
	v_add_f32_e32 v31, v31, v25
	v_add_f32_e32 v25, v27, v24
	;; [unrolled: 1-line block ×4, first 2 shown]
	v_fma_f32 v34, 0xbe8c1d8e, v66, -v83
	v_add_f32_e32 v30, v82, v30
	v_and_b32_e32 v35, 0xffff, v72
	v_sub_f32_e32 v24, v29, v99
	v_add_f32_e32 v29, v45, v38
	v_add_f32_e32 v34, v34, v26
	v_add_f32_e32 v30, v85, v30
	v_add_f32_e32 v28, v44, v39
	v_add_lshl_u32 v35, v46, v35, 3
	v_add_f32_e32 v26, v24, v31
	v_add_f32_e32 v24, v33, v32
	;; [unrolled: 1-line block ×4, first 2 shown]
	ds_write2_b64 v35, v[28:29], v[22:23] offset1:1
	ds_write2_b64 v35, v[26:27], v[20:21] offset0:2 offset1:3
	ds_write2_b64 v35, v[24:25], v[18:19] offset0:4 offset1:5
	ds_write2_b64 v35, v[16:17], v[14:15] offset0:6 offset1:7
	ds_write2_b64 v35, v[12:13], v[30:31] offset0:8 offset1:9
	ds_write2_b64 v35, v[8:9], v[10:11] offset0:10 offset1:11
	ds_write2_b64 v35, v[4:5], v[6:7] offset0:12 offset1:13
	ds_write2_b64 v35, v[0:1], v[2:3] offset0:14 offset1:15
	ds_write_b64 v35, v[49:50] offset:128
.LBB0_7:
	s_or_b32 exec_lo, exec_lo, s4
	v_mad_u64_u32 v[28:29], null, 0x48, v70, s[2:3]
	s_load_dwordx4 s[0:3], s[0:1], 0x0
	s_waitcnt lgkmcnt(0)
	s_barrier
	buffer_gl0_inv
	v_add_lshl_u32 v74, v46, v70, 3
	v_lshl_add_u32 v73, v70, 3, v71
	s_clause 0x4
	global_load_dwordx4 v[24:27], v[28:29], off
	global_load_dwordx4 v[20:23], v[28:29], off offset:16
	global_load_dwordx4 v[16:19], v[28:29], off offset:32
	;; [unrolled: 1-line block ×3, first 2 shown]
	global_load_dwordx2 v[51:52], v[28:29], off offset:64
	ds_read2_b64 v[28:31], v74 offset1:17
	ds_read2_b64 v[32:35], v74 offset0:34 offset1:51
	ds_read2_b64 v[36:39], v74 offset0:68 offset1:85
	;; [unrolled: 1-line block ×4, first 2 shown]
	s_waitcnt vmcnt(4) lgkmcnt(4)
	v_mul_f32_e32 v53, v31, v25
	v_mul_f32_e32 v54, v30, v25
	s_waitcnt lgkmcnt(3)
	v_mul_f32_e32 v55, v33, v27
	v_mul_f32_e32 v56, v32, v27
	s_waitcnt vmcnt(3)
	v_mul_f32_e32 v57, v35, v21
	v_mul_f32_e32 v58, v34, v21
	s_waitcnt lgkmcnt(2)
	v_mul_f32_e32 v59, v37, v23
	v_mul_f32_e32 v60, v36, v23
	s_waitcnt vmcnt(2)
	v_mul_f32_e32 v61, v39, v17
	v_mul_f32_e32 v62, v38, v17
	s_waitcnt lgkmcnt(1)
	v_mul_f32_e32 v63, v41, v19
	v_mul_f32_e32 v64, v40, v19
	s_waitcnt vmcnt(1)
	v_mul_f32_e32 v65, v43, v13
	v_mul_f32_e32 v66, v42, v13
	s_waitcnt lgkmcnt(0)
	v_mul_f32_e32 v75, v45, v15
	v_mul_f32_e32 v76, v44, v15
	s_waitcnt vmcnt(0)
	v_mul_f32_e32 v77, v47, v52
	v_mul_f32_e32 v78, v46, v52
	v_fma_f32 v30, v30, v24, -v53
	v_fmac_f32_e32 v54, v31, v24
	v_fma_f32 v31, v32, v26, -v55
	v_fmac_f32_e32 v56, v33, v26
	;; [unrolled: 2-line block ×9, first 2 shown]
	v_add_f32_e32 v39, v28, v31
	v_add_f32_e32 v40, v33, v35
	v_sub_f32_e32 v41, v56, v76
	v_sub_f32_e32 v43, v31, v33
	;; [unrolled: 1-line block ×3, first 2 shown]
	v_add_f32_e32 v45, v31, v37
	v_add_f32_e32 v53, v29, v56
	;; [unrolled: 1-line block ×3, first 2 shown]
	v_sub_f32_e32 v59, v56, v60
	v_sub_f32_e32 v61, v76, v64
	v_add_f32_e32 v63, v56, v76
	v_sub_f32_e32 v56, v60, v56
	v_sub_f32_e32 v65, v64, v76
	v_add_f32_e32 v75, v30, v32
	v_add_f32_e32 v77, v34, v36
	;; [unrolled: 1-line block ×6, first 2 shown]
	v_sub_f32_e32 v46, v33, v31
	v_sub_f32_e32 v57, v33, v35
	;; [unrolled: 1-line block ×8, first 2 shown]
	v_add_f32_e32 v33, v39, v33
	v_fma_f32 v93, -0.5, v40, v28
	v_add_f32_e32 v39, v43, v44
	v_fma_f32 v40, -0.5, v45, v28
	;; [unrolled: 2-line block ×4, first 2 shown]
	v_add_f32_e32 v29, v56, v65
	v_add_f32_e32 v34, v75, v34
	v_fma_f32 v45, -0.5, v77, v30
	v_fmac_f32_e32 v30, -0.5, v83
	v_add_f32_e32 v56, v86, v62
	v_fma_f32 v59, -0.5, v87, v54
	v_fmac_f32_e32 v54, -0.5, v91
	v_sub_f32_e32 v42, v60, v64
	v_sub_f32_e32 v47, v35, v37
	;; [unrolled: 1-line block ×8, first 2 shown]
	v_add_f32_e32 v33, v33, v35
	v_add_f32_e32 v35, v43, v64
	;; [unrolled: 1-line block ×3, first 2 shown]
	v_fmamk_f32 v36, v79, 0x3f737871, v45
	v_fmac_f32_e32 v45, 0xbf737871, v79
	v_fmamk_f32 v64, v80, 0xbf737871, v30
	v_fmac_f32_e32 v30, 0x3f737871, v80
	v_add_f32_e32 v56, v56, v66
	v_fmamk_f32 v65, v32, 0xbf737871, v59
	v_fmac_f32_e32 v59, 0x3f737871, v32
	v_fmamk_f32 v66, v88, 0x3f737871, v54
	v_fmac_f32_e32 v54, 0xbf737871, v88
	v_sub_f32_e32 v31, v31, v37
	v_add_f32_e32 v28, v46, v47
	v_add_f32_e32 v46, v81, v82
	;; [unrolled: 1-line block ×5, first 2 shown]
	v_fmamk_f32 v62, v42, 0xbf737871, v40
	v_fmac_f32_e32 v40, 0x3f737871, v42
	v_fmamk_f32 v63, v57, 0x3f737871, v55
	v_fmac_f32_e32 v55, 0xbf737871, v57
	v_fmac_f32_e32 v36, 0x3f167918, v80
	;; [unrolled: 1-line block ×9, first 2 shown]
	v_fmamk_f32 v61, v41, 0x3f737871, v93
	v_fmac_f32_e32 v93, 0xbf737871, v41
	v_fmamk_f32 v43, v31, 0xbf737871, v53
	v_fmac_f32_e32 v53, 0x3f737871, v31
	v_add_f32_e32 v33, v33, v37
	v_fmac_f32_e32 v62, 0x3f167918, v41
	v_fmac_f32_e32 v40, 0xbf167918, v41
	v_add_f32_e32 v35, v35, v76
	v_fmac_f32_e32 v63, 0xbf167918, v31
	v_fmac_f32_e32 v55, 0x3f167918, v31
	v_add_f32_e32 v31, v34, v38
	v_add_f32_e32 v37, v56, v78
	v_fmac_f32_e32 v36, 0x3e9e377a, v46
	v_fmac_f32_e32 v45, 0x3e9e377a, v46
	;; [unrolled: 1-line block ×16, first 2 shown]
	v_add_f32_e32 v28, v33, v31
	v_add_f32_e32 v29, v35, v37
	v_sub_f32_e32 v34, v33, v31
	v_sub_f32_e32 v35, v35, v37
	v_mul_f32_e32 v41, 0x3f167918, v65
	v_mul_f32_e32 v42, 0x3f737871, v66
	;; [unrolled: 1-line block ×8, first 2 shown]
	v_fmac_f32_e32 v61, 0x3e9e377a, v39
	v_fmac_f32_e32 v93, 0x3e9e377a, v39
	;; [unrolled: 1-line block ×6, first 2 shown]
	v_fma_f32 v54, 0x3f737871, v54, -v31
	v_fma_f32 v57, 0x3f167918, v59, -v32
	v_fmac_f32_e32 v47, 0x3f4f1bbd, v65
	v_fmac_f32_e32 v56, 0x3e9e377a, v66
	v_fma_f32 v58, 0xbf737871, v30, -v33
	v_fma_f32 v59, 0xbf167918, v45, -v37
	v_add_f32_e32 v30, v61, v41
	v_add_f32_e32 v36, v62, v42
	;; [unrolled: 1-line block ×8, first 2 shown]
	v_sub_f32_e32 v44, v61, v41
	v_sub_f32_e32 v46, v62, v42
	;; [unrolled: 1-line block ×8, first 2 shown]
	ds_write2_b64 v73, v[28:29], v[30:31] offset1:17
	ds_write2_b64 v73, v[36:37], v[38:39] offset0:34 offset1:51
	ds_write2_b64 v73, v[32:33], v[34:35] offset0:68 offset1:85
	;; [unrolled: 1-line block ×4, first 2 shown]
	s_waitcnt lgkmcnt(0)
	s_barrier
	buffer_gl0_inv
	s_and_saveexec_b32 s8, vcc_lo
	s_cbranch_execz .LBB0_9
; %bb.8:
	s_add_u32 s4, s6, 0x550
	s_addc_u32 s5, s7, 0
	s_clause 0x10
	global_load_dwordx2 v[65:66], v68, s[6:7] offset:1360
	global_load_dwordx2 v[95:96], v68, s[4:5] offset:80
	;; [unrolled: 1-line block ×17, first 2 shown]
	ds_read2_b64 v[53:56], v73 offset1:10
	ds_read2_b64 v[57:60], v73 offset0:20 offset1:30
	ds_read2_b64 v[61:64], v73 offset0:40 offset1:50
	;; [unrolled: 1-line block ×7, first 2 shown]
	ds_read_b64 v[127:128], v73 offset:1280
	s_waitcnt vmcnt(16) lgkmcnt(8)
	v_mul_f32_e32 v129, v54, v66
	v_mul_f32_e32 v130, v53, v66
	s_waitcnt vmcnt(15)
	v_mul_f32_e32 v131, v56, v96
	v_mul_f32_e32 v66, v55, v96
	s_waitcnt vmcnt(14) lgkmcnt(7)
	v_mul_f32_e32 v132, v58, v98
	v_mul_f32_e32 v96, v57, v98
	s_waitcnt vmcnt(13)
	v_mul_f32_e32 v133, v60, v100
	v_mul_f32_e32 v98, v59, v100
	s_waitcnt vmcnt(12) lgkmcnt(6)
	v_mul_f32_e32 v134, v62, v102
	v_mul_f32_e32 v100, v61, v102
	s_waitcnt vmcnt(11)
	v_mul_f32_e32 v135, v64, v104
	v_mul_f32_e32 v102, v63, v104
	s_waitcnt vmcnt(10) lgkmcnt(5)
	v_mul_f32_e32 v136, v76, v106
	v_mul_f32_e32 v104, v75, v106
	s_waitcnt vmcnt(9)
	v_mul_f32_e32 v137, v78, v108
	v_mul_f32_e32 v106, v77, v108
	s_waitcnt vmcnt(8) lgkmcnt(4)
	v_mul_f32_e32 v138, v80, v110
	v_mul_f32_e32 v108, v79, v110
	s_waitcnt vmcnt(7)
	v_mul_f32_e32 v139, v82, v112
	v_mul_f32_e32 v110, v81, v112
	s_waitcnt vmcnt(6) lgkmcnt(3)
	v_mul_f32_e32 v140, v84, v114
	v_mul_f32_e32 v112, v83, v114
	s_waitcnt vmcnt(5)
	v_mul_f32_e32 v141, v86, v116
	v_mul_f32_e32 v114, v85, v116
	s_waitcnt vmcnt(4) lgkmcnt(2)
	v_mul_f32_e32 v142, v88, v118
	v_mul_f32_e32 v116, v87, v118
	s_waitcnt vmcnt(3)
	v_mul_f32_e32 v143, v90, v120
	v_mul_f32_e32 v118, v89, v120
	s_waitcnt vmcnt(2) lgkmcnt(1)
	v_mul_f32_e32 v144, v92, v122
	v_mul_f32_e32 v120, v91, v122
	s_waitcnt vmcnt(1)
	v_mul_f32_e32 v145, v94, v124
	v_mul_f32_e32 v122, v93, v124
	s_waitcnt vmcnt(0) lgkmcnt(0)
	v_mul_f32_e32 v146, v128, v126
	v_mul_f32_e32 v124, v127, v126
	v_fma_f32 v129, v53, v65, -v129
	v_fmac_f32_e32 v130, v54, v65
	v_fma_f32 v65, v55, v95, -v131
	v_fmac_f32_e32 v66, v56, v95
	v_fma_f32 v95, v57, v97, -v132
	v_fmac_f32_e32 v96, v58, v97
	v_fma_f32 v97, v59, v99, -v133
	v_fmac_f32_e32 v98, v60, v99
	v_fma_f32 v99, v61, v101, -v134
	v_fmac_f32_e32 v100, v62, v101
	v_fma_f32 v101, v63, v103, -v135
	v_fmac_f32_e32 v102, v64, v103
	v_fma_f32 v103, v75, v105, -v136
	v_fmac_f32_e32 v104, v76, v105
	v_fma_f32 v105, v77, v107, -v137
	v_fmac_f32_e32 v106, v78, v107
	v_fma_f32 v107, v79, v109, -v138
	v_fmac_f32_e32 v108, v80, v109
	v_fma_f32 v109, v81, v111, -v139
	v_fmac_f32_e32 v110, v82, v111
	v_fma_f32 v111, v83, v113, -v140
	v_fmac_f32_e32 v112, v84, v113
	v_fma_f32 v113, v85, v115, -v141
	v_fmac_f32_e32 v114, v86, v115
	v_fma_f32 v115, v87, v117, -v142
	v_fmac_f32_e32 v116, v88, v117
	v_fma_f32 v117, v89, v119, -v143
	v_fmac_f32_e32 v118, v90, v119
	v_fma_f32 v119, v91, v121, -v144
	v_fmac_f32_e32 v120, v92, v121
	v_fma_f32 v121, v93, v123, -v145
	v_fmac_f32_e32 v122, v94, v123
	v_fma_f32 v123, v127, v125, -v146
	v_fmac_f32_e32 v124, v128, v125
	ds_write2_b64 v73, v[129:130], v[65:66] offset1:10
	ds_write2_b64 v73, v[95:96], v[97:98] offset0:20 offset1:30
	ds_write2_b64 v73, v[99:100], v[101:102] offset0:40 offset1:50
	;; [unrolled: 1-line block ×7, first 2 shown]
	ds_write_b64 v73, v[123:124] offset:1280
.LBB0_9:
	s_or_b32 exec_lo, exec_lo, s8
	s_waitcnt lgkmcnt(0)
	s_barrier
	buffer_gl0_inv
	s_and_saveexec_b32 s4, vcc_lo
	s_cbranch_execz .LBB0_11
; %bb.10:
	ds_read2_b64 v[28:31], v73 offset1:10
	ds_read2_b64 v[36:39], v73 offset0:20 offset1:30
	ds_read2_b64 v[32:35], v73 offset0:40 offset1:50
	;; [unrolled: 1-line block ×7, first 2 shown]
	ds_read_b64 v[49:50], v73 offset:1280
.LBB0_11:
	s_or_b32 exec_lo, exec_lo, s4
	s_waitcnt lgkmcnt(0)
	s_barrier
	buffer_gl0_inv
	s_and_saveexec_b32 s4, vcc_lo
	s_cbranch_execz .LBB0_13
; %bb.12:
	v_add_f32_e32 v66, v50, v31
	v_sub_f32_e32 v80, v30, v49
	v_add_f32_e32 v194, v3, v37
	v_sub_f32_e32 v76, v36, v2
	v_add_f32_e32 v192, v1, v39
	v_mul_f32_e32 v94, 0xbf7ba420, v66
	v_sub_f32_e32 v77, v38, v0
	v_mul_f32_e32 v96, 0x3f6eb680, v194
	v_add_f32_e32 v187, v7, v33
	v_mul_f32_e32 v97, 0xbf59a7d5, v192
	v_fmamk_f32 v53, v80, 0x3e3c28d5, v94
	v_sub_f32_e32 v75, v32, v6
	v_fmamk_f32 v54, v76, 0xbeb8f4ab, v96
	v_add_f32_e32 v188, v5, v35
	v_mul_f32_e32 v98, 0x3f3d2fb0, v187
	v_add_f32_e32 v53, v29, v53
	v_fmamk_f32 v55, v77, 0x3f06c442, v97
	v_sub_f32_e32 v154, v31, v50
	v_sub_f32_e32 v78, v34, v4
	v_add_f32_e32 v65, v11, v45
	v_add_f32_e32 v53, v54, v53
	;; [unrolled: 1-line block ×3, first 2 shown]
	v_mul_f32_e32 v103, 0xbf1a4643, v188
	v_fmamk_f32 v54, v75, 0xbf2c7751, v98
	v_sub_f32_e32 v155, v37, v3
	v_add_f32_e32 v53, v55, v53
	v_mul_f32_e32 v102, 0xbe3c28d5, v154
	v_sub_f32_e32 v79, v44, v10
	v_mul_f32_e32 v100, 0x3ee437d1, v65
	v_fmamk_f32 v55, v78, 0x3f4c4adb, v103
	v_add_f32_e32 v53, v54, v53
	v_add_f32_e32 v83, v2, v36
	v_mul_f32_e32 v101, 0x3eb8f4ab, v155
	v_fmamk_f32 v56, v82, 0xbf7ba420, v102
	v_sub_f32_e32 v167, v39, v1
	v_fmamk_f32 v54, v79, 0xbf65296c, v100
	v_add_f32_e32 v53, v55, v53
	v_fmamk_f32 v55, v83, 0x3f6eb680, v101
	v_add_f32_e32 v56, v28, v56
	v_add_f32_e32 v85, v0, v38
	v_mul_f32_e32 v95, 0xbf06c442, v167
	v_sub_f32_e32 v174, v33, v7
	v_add_f32_e32 v177, v9, v47
	v_add_f32_e32 v53, v54, v53
	;; [unrolled: 1-line block ×3, first 2 shown]
	v_fmamk_f32 v55, v85, 0xbf59a7d5, v95
	v_add_f32_e32 v86, v6, v32
	v_mul_f32_e32 v91, 0x3f2c7751, v174
	v_sub_f32_e32 v175, v35, v5
	v_mul_f32_e32 v99, 0xbe8c1d8e, v177
	v_sub_f32_e32 v81, v46, v8
	v_add_f32_e32 v180, v43, v41
	v_add_f32_e32 v54, v55, v54
	v_fmamk_f32 v55, v86, 0x3f3d2fb0, v91
	v_add_f32_e32 v87, v4, v34
	v_mul_f32_e32 v92, 0xbf4c4adb, v175
	v_sub_f32_e32 v171, v45, v11
	v_fmamk_f32 v56, v81, 0x3f763a35, v99
	v_mul_f32_e32 v106, 0x3dbcf732, v180
	v_sub_f32_e32 v84, v40, v42
	v_add_f32_e32 v54, v55, v54
	v_fmamk_f32 v55, v87, 0xbf1a4643, v92
	v_add_f32_e32 v88, v10, v44
	v_mul_f32_e32 v93, 0x3f65296c, v171
	v_mul_f32_e32 v121, 0xbf59a7d5, v66
	v_add_f32_e32 v53, v56, v53
	v_fmamk_f32 v56, v84, 0xbf7ee86f, v106
	v_add_f32_e32 v55, v55, v54
	v_fmamk_f32 v57, v88, 0x3ee437d1, v93
	v_fmamk_f32 v58, v80, 0x3f06c442, v121
	v_mul_f32_e32 v107, 0x3ee437d1, v194
	v_add_f32_e32 v54, v56, v53
	v_sub_f32_e32 v178, v47, v9
	v_add_f32_e32 v53, v57, v55
	v_add_f32_e32 v55, v29, v58
	v_fmamk_f32 v56, v76, 0xbf65296c, v107
	v_mul_f32_e32 v108, 0x3dbcf732, v192
	v_add_f32_e32 v90, v8, v46
	v_mul_f32_e32 v104, 0xbf763a35, v178
	v_sub_f32_e32 v179, v41, v43
	v_add_f32_e32 v55, v56, v55
	v_fmamk_f32 v56, v77, 0x3f7ee86f, v108
	v_mul_f32_e32 v112, 0xbf1a4643, v187
	v_fmamk_f32 v57, v90, 0xbe8c1d8e, v104
	v_add_f32_e32 v89, v42, v40
	v_mul_f32_e32 v105, 0x3f7ee86f, v179
	v_add_f32_e32 v55, v56, v55
	v_fmamk_f32 v56, v75, 0xbf4c4adb, v112
	v_mul_f32_e32 v113, 0x3f6eb680, v188
	v_add_f32_e32 v53, v57, v53
	v_fmamk_f32 v57, v89, 0x3dbcf732, v105
	;; [unrolled: 3-line block ×85, first 2 shown]
	v_mul_f32_e32 v203, 0x3ee437d1, v177
	v_add_f32_e32 v31, v31, v29
	v_add_f32_e32 v205, v28, v132
	v_fmamk_f32 v207, v83, 0x3dbcf732, v217
	v_mul_f32_e32 v182, 0xbf4c4adb, v167
	v_add_f32_e32 v196, v196, v183
	v_fmamk_f32 v208, v81, 0xbf65296c, v203
	v_mul_f32_e32 v132, 0x3f6eb680, v180
	v_add_f32_e32 v31, v37, v31
	v_add_f32_e32 v30, v30, v28
	v_add_f32_e32 v207, v207, v205
	v_fmamk_f32 v209, v85, 0xbf1a4643, v182
	v_mul_f32_e32 v183, 0xbe3c28d5, v174
	v_add_f32_e32 v208, v208, v196
	v_fmamk_f32 v218, v84, 0xbeb8f4ab, v132
	v_mul_f32_e32 v205, 0x3f6eb680, v66
	v_add_f32_e32 v31, v39, v31
	;; [unrolled: 8-line block ×6, first 2 shown]
	v_add_f32_e32 v30, v44, v30
	v_add_f32_e32 v218, v221, v218
	v_fmamk_f32 v221, v89, 0x3f6eb680, v187
	v_add_f32_e32 v219, v220, v219
	v_fmamk_f32 v220, v78, 0x3f763a35, v188
	v_mul_f32_e32 v37, 0xbf1a4643, v65
	v_add_f32_e32 v31, v41, v31
	v_add_f32_e32 v30, v46, v30
	;; [unrolled: 1-line block ×4, first 2 shown]
	v_fmamk_f32 v39, v79, 0x3f4c4adb, v37
	v_mul_f32_e32 v36, 0xbf59a7d5, v177
	v_mul_f32_e32 v154, 0xbeb8f4ab, v154
	v_add_f32_e32 v43, v43, v31
	v_add_f32_e32 v30, v40, v30
	v_add_f32_e32 v33, v39, v218
	v_fmamk_f32 v38, v81, 0x3f06c442, v36
	v_fmamk_f32 v39, v82, 0x3f6eb680, v154
	v_mul_f32_e32 v35, 0xbf2c7751, v155
	v_add_f32_e32 v9, v9, v43
	v_add_f32_e32 v30, v42, v30
	v_fmac_f32_e32 v94, 0xbe3c28d5, v80
	v_add_f32_e32 v33, v38, v33
	v_add_f32_e32 v38, v28, v39
	v_fmamk_f32 v34, v83, 0x3f3d2fb0, v35
	v_mul_f32_e32 v39, 0xbf65296c, v167
	v_add_f32_e32 v9, v11, v9
	v_add_f32_e32 v8, v8, v30
	;; [unrolled: 1-line block ×3, first 2 shown]
	v_fmac_f32_e32 v96, 0x3eb8f4ab, v76
	v_mul_f32_e32 v32, 0xbf7ba420, v180
	v_add_f32_e32 v34, v34, v38
	v_fmamk_f32 v38, v85, 0x3ee437d1, v39
	v_mul_f32_e32 v44, 0xbf7ee86f, v174
	v_add_f32_e32 v5, v5, v9
	v_add_f32_e32 v8, v10, v8
	;; [unrolled: 1-line block ×3, first 2 shown]
	v_fmac_f32_e32 v97, 0xbf06c442, v77
	v_fmamk_f32 v41, v84, 0x3e3c28d5, v32
	v_add_f32_e32 v34, v38, v34
	v_fmamk_f32 v38, v86, 0x3dbcf732, v44
	v_mul_f32_e32 v40, 0xbf763a35, v175
	v_add_f32_e32 v5, v7, v5
	v_add_f32_e32 v4, v4, v8
	;; [unrolled: 1-line block ×3, first 2 shown]
	v_fmac_f32_e32 v98, 0x3f2c7751, v75
	v_add_f32_e32 v31, v41, v33
	v_add_f32_e32 v33, v38, v34
	v_fmamk_f32 v34, v87, 0xbe8c1d8e, v40
	v_mul_f32_e32 v38, 0xbf4c4adb, v171
	v_add_f32_e32 v1, v1, v5
	v_add_f32_e32 v4, v6, v4
	;; [unrolled: 1-line block ×3, first 2 shown]
	v_fmac_f32_e32 v103, 0xbf4c4adb, v78
	v_add_f32_e32 v30, v34, v33
	v_fmamk_f32 v33, v88, 0xbf1a4643, v38
	v_mul_f32_e32 v41, 0xbf06c442, v178
	v_add_f32_e32 v1, v3, v1
	v_add_f32_e32 v0, v0, v4
	;; [unrolled: 1-line block ×3, first 2 shown]
	v_fmac_f32_e32 v100, 0x3f65296c, v79
	v_add_f32_e32 v10, v33, v30
	v_fmamk_f32 v8, v90, 0xbf59a7d5, v41
	v_mul_f32_e32 v42, 0xbe3c28d5, v179
	v_fma_f32 v4, 0xbf7ba420, v82, -v102
	v_add_f32_e32 v0, v2, v0
	v_add_f32_e32 v2, v100, v3
	v_fmac_f32_e32 v99, 0xbf763a35, v81
	v_add_f32_e32 v6, v8, v10
	v_fmamk_f32 v7, v89, 0xbf7ba420, v42
	v_add_f32_e32 v3, v28, v4
	v_fma_f32 v4, 0x3f6eb680, v83, -v101
	v_fmac_f32_e32 v121, 0xbf06c442, v80
	v_add_f32_e32 v2, v99, v2
	v_fmac_f32_e32 v106, 0x3f7ee86f, v84
	v_add_f32_e32 v30, v7, v6
	v_add_f32_e32 v4, v4, v3
	v_fma_f32 v5, 0xbf59a7d5, v85, -v95
	v_add_f32_e32 v6, v29, v121
	v_fmac_f32_e32 v107, 0x3f65296c, v76
	v_add_f32_e32 v3, v106, v2
	v_fma_f32 v2, 0xbf59a7d5, v82, -v125
	v_add_f32_e32 v4, v5, v4
	v_fma_f32 v5, 0x3f3d2fb0, v86, -v91
	v_add_f32_e32 v6, v107, v6
	v_fmac_f32_e32 v108, 0xbf7ee86f, v77
	v_add_f32_e32 v2, v28, v2
	v_fma_f32 v7, 0x3ee437d1, v83, -v126
	;; [unrolled: 6-line block ×6, first 2 shown]
	v_fmac_f32_e32 v123, 0xbf4c4adb, v80
	v_add_f32_e32 v2, v5, v4
	v_add_f32_e32 v4, v114, v6
	v_fmac_f32_e32 v115, 0xbf763a35, v84
	v_add_f32_e32 v6, v8, v7
	v_fma_f32 v7, 0x3f3d2fb0, v90, -v135
	v_add_f32_e32 v8, v29, v123
	v_fmac_f32_e32 v120, 0x3f763a35, v76
	v_add_f32_e32 v5, v115, v4
	v_fma_f32 v4, 0xbf1a4643, v82, -v137
	v_add_f32_e32 v6, v7, v6
	v_fma_f32 v7, 0xbe8c1d8e, v89, -v122
	v_add_f32_e32 v8, v120, v8
	v_fmac_f32_e32 v109, 0xbeb8f4ab, v77
	v_add_f32_e32 v9, v28, v4
	v_fma_f32 v10, 0xbe8c1d8e, v83, -v139
	v_add_f32_e32 v4, v7, v6
	v_fmac_f32_e32 v157, 0xbf763a35, v80
	v_add_f32_e32 v6, v109, v8
	v_fmac_f32_e32 v110, 0xbf06c442, v75
	v_add_f32_e32 v7, v10, v9
	v_fma_f32 v8, 0x3f6eb680, v85, -v128
	v_add_f32_e32 v9, v29, v157
	v_fmac_f32_e32 v158, 0x3f06c442, v76
	;; [unrolled: 6-line block ×6, first 2 shown]
	v_add_f32_e32 v7, v118, v6
	v_fma_f32 v6, 0xbe8c1d8e, v82, -v162
	v_add_f32_e32 v8, v10, v8
	v_fma_f32 v10, 0x3ee437d1, v89, -v131
	v_add_f32_e32 v9, v163, v9
	v_fmac_f32_e32 v143, 0xbeb8f4ab, v81
	v_add_f32_e32 v11, v28, v6
	v_fma_f32 v33, 0xbf59a7d5, v83, -v164
	v_fmac_f32_e32 v176, 0xbf7ee86f, v80
	v_add_f32_e32 v6, v10, v8
	v_add_f32_e32 v8, v143, v9
	v_fmac_f32_e32 v144, 0xbf4c4adb, v84
	v_add_f32_e32 v10, v33, v11
	v_fma_f32 v11, 0x3f3d2fb0, v85, -v145
	v_add_f32_e32 v33, v29, v176
	v_fmac_f32_e32 v148, 0xbe3c28d5, v76
	v_add_f32_e32 v9, v144, v8
	v_fma_f32 v8, 0x3dbcf732, v82, -v185
	v_add_f32_e32 v10, v11, v10
	v_fma_f32 v11, 0x3ee437d1, v86, -v124
	v_add_f32_e32 v33, v148, v33
	v_fmac_f32_e32 v149, 0x3f763a35, v77
	v_add_f32_e32 v8, v28, v8
	v_fma_f32 v34, 0xbf7ba420, v83, -v186
	;; [unrolled: 6-line block ×6, first 2 shown]
	v_add_f32_e32 v8, v11, v10
	v_fmac_f32_e32 v184, 0xbf65296c, v80
	v_add_f32_e32 v10, v165, v33
	v_fmac_f32_e32 v166, 0x3f2c7751, v84
	v_add_f32_e32 v33, v43, v34
	v_fma_f32 v34, 0xbf1a4643, v90, -v197
	v_add_f32_e32 v43, v29, v184
	v_fmac_f32_e32 v173, 0xbf4c4adb, v76
	v_add_f32_e32 v11, v166, v10
	v_fma_f32 v10, 0x3ee437d1, v82, -v198
	v_add_f32_e32 v33, v34, v33
	v_fma_f32 v34, 0x3f3d2fb0, v89, -v181
	v_add_f32_e32 v43, v173, v43
	v_fmac_f32_e32 v150, 0x3e3c28d5, v77
	v_add_f32_e32 v45, v28, v10
	v_fma_f32 v46, 0xbf1a4643, v83, -v199
	v_fmac_f32_e32 v210, 0xbf2c7751, v80
	v_add_f32_e32 v10, v34, v33
	v_add_f32_e32 v33, v150, v43
	v_fmac_f32_e32 v151, 0x3f763a35, v75
	v_add_f32_e32 v34, v46, v45
	v_fma_f32 v43, 0xbf7ba420, v85, -v190
	v_add_f32_e32 v45, v29, v210
	v_fmac_f32_e32 v211, 0xbf7ee86f, v76
	v_add_f32_e32 v33, v151, v33
	v_fmac_f32_e32 v152, 0x3f2c7751, v78
	v_add_f32_e32 v34, v43, v34
	v_fma_f32 v43, 0xbe8c1d8e, v86, -v191
	v_add_f32_e32 v45, v211, v45
	v_fmac_f32_e32 v212, 0xbf4c4adb, v77
	;; [unrolled: 6-line block ×5, first 2 shown]
	v_add_f32_e32 v34, v170, v33
	v_fma_f32 v33, 0x3f3d2fb0, v82, -v215
	v_add_f32_e32 v43, v46, v43
	v_fma_f32 v46, 0xbf59a7d5, v89, -v195
	v_add_f32_e32 v45, v216, v45
	v_fmac_f32_e32 v203, 0x3f65296c, v81
	v_add_f32_e32 v0, v49, v0
	v_add_f32_e32 v47, v28, v33
	v_fma_f32 v49, 0x3dbcf732, v83, -v217
	v_add_f32_e32 v33, v46, v43
	v_fmac_f32_e32 v205, 0xbeb8f4ab, v80
	v_add_f32_e32 v43, v203, v45
	v_fma_f32 v45, 0x3f6eb680, v82, -v154
	v_add_f32_e32 v46, v49, v47
	v_fma_f32 v47, 0xbf1a4643, v85, -v182
	v_add_f32_e32 v29, v29, v205
	v_fmac_f32_e32 v207, 0xbf2c7751, v76
	v_add_f32_e32 v28, v28, v45
	v_fma_f32 v35, 0x3f3d2fb0, v83, -v35
	;; [unrolled: 6-line block ×6, first 2 shown]
	v_add_f32_e32 v38, v40, v39
	v_fmac_f32_e32 v36, 0xbf06c442, v81
	v_add_f32_e32 v29, v37, v29
	v_and_b32_e32 v39, 0xffff, v72
	v_add_f32_e32 v28, v35, v28
	v_fma_f32 v35, 0xbf59a7d5, v90, -v41
	v_add_f32_e32 v1, v50, v1
	v_fmac_f32_e32 v132, 0x3eb8f4ab, v84
	v_fma_f32 v37, 0x3f6eb680, v89, -v187
	v_add_f32_e32 v36, v36, v29
	v_fmac_f32_e32 v32, 0xbe3c28d5, v84
	v_add_f32_e32 v35, v35, v28
	v_fma_f32 v40, 0xbf7ba420, v89, -v42
	v_lshl_add_u32 v39, v39, 3, v71
	v_add_f32_e32 v29, v132, v43
	v_add_f32_e32 v28, v37, v38
	;; [unrolled: 1-line block ×4, first 2 shown]
	ds_write2_b64 v39, v[0:1], v[30:31] offset1:1
	ds_write2_b64 v39, v[65:66], v[63:64] offset0:2 offset1:3
	ds_write2_b64 v39, v[61:62], v[59:60] offset0:4 offset1:5
	;; [unrolled: 1-line block ×7, first 2 shown]
	ds_write_b64 v39, v[35:36] offset:128
.LBB0_13:
	s_or_b32 exec_lo, exec_lo, s4
	s_waitcnt lgkmcnt(0)
	s_barrier
	buffer_gl0_inv
	ds_read2_b64 v[0:3], v74 offset1:17
	ds_read2_b64 v[4:7], v74 offset0:34 offset1:51
	ds_read2_b64 v[8:11], v74 offset0:68 offset1:85
	;; [unrolled: 1-line block ×4, first 2 shown]
	s_waitcnt lgkmcnt(4)
	v_mul_f32_e32 v36, v25, v3
	s_waitcnt lgkmcnt(3)
	v_mul_f32_e32 v38, v21, v7
	;; [unrolled: 2-line block ×3, first 2 shown]
	v_mul_f32_e32 v37, v27, v5
	v_mul_f32_e32 v21, v21, v6
	;; [unrolled: 1-line block ×4, first 2 shown]
	v_fmac_f32_e32 v38, v20, v6
	s_waitcnt lgkmcnt(1)
	v_mul_f32_e32 v6, v19, v29
	v_fmac_f32_e32 v40, v16, v10
	s_waitcnt lgkmcnt(0)
	v_mul_f32_e32 v10, v15, v32
	v_mul_f32_e32 v15, v15, v33
	;; [unrolled: 1-line block ×4, first 2 shown]
	v_fmac_f32_e32 v37, v26, v4
	v_fma_f32 v4, v20, v7, -v21
	v_fmac_f32_e32 v39, v22, v8
	v_mul_f32_e32 v7, v19, v28
	v_fmac_f32_e32 v6, v18, v28
	v_fmac_f32_e32 v15, v14, v32
	v_mul_f32_e32 v25, v25, v2
	v_fmac_f32_e32 v36, v24, v2
	v_fma_f32 v2, v26, v5, -v27
	v_fma_f32 v5, v22, v9, -v23
	v_mul_f32_e32 v8, v13, v31
	v_fma_f32 v9, v16, v11, -v17
	v_fma_f32 v7, v18, v29, -v7
	v_mul_f32_e32 v11, v13, v30
	v_add_f32_e32 v13, v39, v6
	v_fma_f32 v10, v14, v33, -v10
	v_add_f32_e32 v17, v0, v37
	v_sub_f32_e32 v19, v37, v39
	v_sub_f32_e32 v20, v15, v6
	v_add_f32_e32 v21, v37, v15
	v_fmac_f32_e32 v8, v12, v30
	v_fma_f32 v13, -0.5, v13, v0
	v_sub_f32_e32 v18, v2, v10
	v_fma_f32 v11, v12, v31, -v11
	v_add_f32_e32 v12, v17, v39
	v_sub_f32_e32 v17, v5, v7
	v_mul_f32_e32 v22, v52, v34
	v_add_f32_e32 v19, v19, v20
	v_fma_f32 v20, -0.5, v21, v0
	v_fma_f32 v3, v24, v3, -v25
	v_fmamk_f32 v14, v18, 0xbf737871, v13
	v_add_f32_e32 v12, v12, v6
	v_fma_f32 v0, v51, v35, -v22
	v_fmac_f32_e32 v13, 0x3f737871, v18
	v_fmamk_f32 v21, v17, 0x3f737871, v20
	v_sub_f32_e32 v22, v39, v37
	v_sub_f32_e32 v23, v6, v15
	v_add_f32_e32 v24, v1, v2
	v_add_f32_e32 v25, v5, v7
	v_fmac_f32_e32 v20, 0xbf737871, v17
	v_fmac_f32_e32 v14, 0xbf167918, v17
	v_add_f32_e32 v12, v12, v15
	v_fmac_f32_e32 v13, 0x3f167918, v17
	v_fmac_f32_e32 v21, 0xbf167918, v18
	v_add_f32_e32 v22, v22, v23
	v_add_f32_e32 v17, v24, v5
	v_fma_f32 v23, -0.5, v25, v1
	v_sub_f32_e32 v15, v37, v15
	v_fmac_f32_e32 v20, 0x3f167918, v18
	v_add_f32_e32 v18, v2, v10
	v_mul_f32_e32 v16, v52, v35
	v_fmac_f32_e32 v14, 0x3e9e377a, v19
	v_fmac_f32_e32 v13, 0x3e9e377a, v19
	;; [unrolled: 1-line block ×3, first 2 shown]
	v_add_f32_e32 v17, v17, v7
	v_fmamk_f32 v19, v15, 0x3f737871, v23
	v_sub_f32_e32 v6, v39, v6
	v_sub_f32_e32 v24, v2, v5
	;; [unrolled: 1-line block ×3, first 2 shown]
	v_fmac_f32_e32 v20, 0x3e9e377a, v22
	v_fma_f32 v22, -0.5, v18, v1
	v_fmac_f32_e32 v23, 0xbf737871, v15
	v_sub_f32_e32 v2, v5, v2
	v_sub_f32_e32 v5, v7, v10
	v_add_f32_e32 v7, v36, v38
	v_fmac_f32_e32 v16, v51, v34
	v_fmac_f32_e32 v19, 0x3f167918, v6
	v_add_f32_e32 v1, v24, v25
	v_fmamk_f32 v24, v6, 0xbf737871, v22
	v_fmac_f32_e32 v23, 0xbf167918, v6
	v_add_f32_e32 v2, v2, v5
	v_fmac_f32_e32 v22, 0x3f737871, v6
	v_add_f32_e32 v5, v7, v40
	v_add_f32_e32 v6, v40, v8
	v_fmac_f32_e32 v19, 0x3e9e377a, v1
	v_fmac_f32_e32 v24, 0x3f167918, v15
	;; [unrolled: 1-line block ×4, first 2 shown]
	v_add_f32_e32 v1, v5, v8
	v_fma_f32 v5, -0.5, v6, v36
	v_add_f32_e32 v6, v38, v16
	v_sub_f32_e32 v7, v4, v0
	v_add_f32_e32 v17, v17, v10
	v_fmac_f32_e32 v24, 0x3e9e377a, v2
	v_fmac_f32_e32 v22, 0x3e9e377a, v2
	v_add_f32_e32 v10, v1, v16
	v_sub_f32_e32 v1, v9, v11
	v_fmac_f32_e32 v36, -0.5, v6
	v_fmamk_f32 v15, v7, 0xbf737871, v5
	v_sub_f32_e32 v2, v38, v40
	v_sub_f32_e32 v6, v16, v8
	v_fmac_f32_e32 v5, 0x3f737871, v7
	v_fmamk_f32 v18, v1, 0x3f737871, v36
	v_fmac_f32_e32 v15, 0xbf167918, v1
	v_sub_f32_e32 v25, v40, v38
	v_add_f32_e32 v2, v2, v6
	v_fmac_f32_e32 v5, 0x3f167918, v1
	v_sub_f32_e32 v26, v8, v16
	v_fmac_f32_e32 v36, 0xbf737871, v1
	v_add_f32_e32 v1, v9, v11
	v_fmac_f32_e32 v15, 0x3e9e377a, v2
	v_fmac_f32_e32 v5, 0x3e9e377a, v2
	v_add_f32_e32 v2, v4, v0
	v_fmac_f32_e32 v18, 0xbf167918, v7
	v_add_f32_e32 v6, v25, v26
	v_fmac_f32_e32 v36, 0x3f167918, v7
	v_fma_f32 v1, -0.5, v1, v3
	v_sub_f32_e32 v7, v38, v16
	v_add_f32_e32 v16, v3, v4
	v_sub_f32_e32 v8, v40, v8
	v_fmac_f32_e32 v3, -0.5, v2
	v_fmac_f32_e32 v18, 0x3e9e377a, v6
	v_fmac_f32_e32 v36, 0x3e9e377a, v6
	v_fmamk_f32 v25, v7, 0x3f737871, v1
	v_sub_f32_e32 v2, v4, v9
	v_sub_f32_e32 v6, v0, v11
	v_fmamk_f32 v26, v8, 0xbf737871, v3
	v_sub_f32_e32 v4, v9, v4
	v_sub_f32_e32 v27, v11, v0
	v_fmac_f32_e32 v3, 0x3f737871, v8
	v_fmac_f32_e32 v1, 0xbf737871, v7
	;; [unrolled: 1-line block ×3, first 2 shown]
	v_add_f32_e32 v2, v2, v6
	v_fmac_f32_e32 v26, 0x3f167918, v7
	v_add_f32_e32 v4, v4, v27
	v_fmac_f32_e32 v3, 0xbf167918, v7
	v_fmac_f32_e32 v1, 0xbf167918, v8
	v_add_f32_e32 v6, v16, v9
	v_fmac_f32_e32 v25, 0x3e9e377a, v2
	v_fmac_f32_e32 v26, 0x3e9e377a, v4
	v_fmac_f32_e32 v3, 0x3e9e377a, v4
	v_fmac_f32_e32 v1, 0x3e9e377a, v2
	v_add_f32_e32 v4, v6, v11
	v_mul_f32_e32 v11, 0xbf167918, v25
	v_mul_f32_e32 v25, 0x3f4f1bbd, v25
	;; [unrolled: 1-line block ×8, first 2 shown]
	v_add_f32_e32 v28, v4, v0
	v_fmac_f32_e32 v11, 0x3f4f1bbd, v15
	v_fmac_f32_e32 v25, 0x3f167918, v15
	;; [unrolled: 1-line block ×8, first 2 shown]
	v_add_f32_e32 v0, v12, v10
	v_add_f32_e32 v2, v14, v11
	;; [unrolled: 1-line block ×10, first 2 shown]
	v_sub_f32_e32 v10, v12, v10
	v_sub_f32_e32 v12, v14, v11
	;; [unrolled: 1-line block ×10, first 2 shown]
	ds_write2_b64 v73, v[0:1], v[2:3] offset1:17
	ds_write2_b64 v73, v[4:5], v[6:7] offset0:34 offset1:51
	ds_write2_b64 v73, v[8:9], v[10:11] offset0:68 offset1:85
	ds_write2_b64 v73, v[12:13], v[14:15] offset0:102 offset1:119
	ds_write2_b64 v73, v[16:17], v[18:19] offset0:136 offset1:153
	s_waitcnt lgkmcnt(0)
	s_barrier
	buffer_gl0_inv
	s_and_b32 exec_lo, exec_lo, vcc_lo
	s_cbranch_execz .LBB0_15
; %bb.14:
	global_load_dwordx2 v[0:1], v68, s[6:7]
	ds_read_b64 v[2:3], v73
	s_mov_b32 s4, 0x18181818
	s_mov_b32 s5, 0x3f781818
	v_mad_u64_u32 v[6:7], null, s0, v70, 0
	s_mul_hi_u32 s8, s0, 0x50
	s_waitcnt vmcnt(0) lgkmcnt(0)
	v_mul_f32_e32 v4, v3, v1
	v_mul_f32_e32 v1, v2, v1
	v_fmac_f32_e32 v4, v2, v0
	v_fma_f32 v2, v0, v3, -v1
	v_cvt_f64_f32_e32 v[0:1], v4
	v_cvt_f64_f32_e32 v[2:3], v2
	v_mad_u64_u32 v[4:5], null, s2, v48, 0
	s_mul_i32 s2, s1, 0x50
	s_add_i32 s2, s8, s2
	v_mad_u64_u32 v[8:9], null, s3, v48, v[5:6]
	s_mul_i32 s3, s0, 0x50
	v_mad_u64_u32 v[9:10], null, s1, v70, v[7:8]
	v_mov_b32_e32 v5, v8
	v_mul_f64 v[0:1], v[0:1], s[4:5]
	v_mul_f64 v[2:3], v[2:3], s[4:5]
	v_mov_b32_e32 v7, v9
	v_cvt_f32_f64_e32 v0, v[0:1]
	v_cvt_f32_f64_e32 v1, v[2:3]
	v_lshlrev_b64 v[2:3], 3, v[4:5]
	v_lshlrev_b64 v[4:5], 3, v[6:7]
	v_add_co_u32 v9, vcc_lo, s12, v2
	v_add_co_ci_u32_e32 v10, vcc_lo, s13, v3, vcc_lo
	v_add_co_u32 v4, vcc_lo, v9, v4
	v_add_co_ci_u32_e32 v5, vcc_lo, v10, v5, vcc_lo
	global_store_dwordx2 v[4:5], v[0:1], off
	global_load_dwordx2 v[6:7], v68, s[6:7] offset:80
	ds_read2_b64 v[0:3], v73 offset0:10 offset1:20
	v_add_co_u32 v4, vcc_lo, v4, s3
	v_add_co_ci_u32_e32 v5, vcc_lo, s2, v5, vcc_lo
	s_waitcnt vmcnt(0) lgkmcnt(0)
	v_mul_f32_e32 v8, v1, v7
	v_mul_f32_e32 v7, v0, v7
	v_fmac_f32_e32 v8, v0, v6
	v_fma_f32 v6, v6, v1, -v7
	v_cvt_f64_f32_e32 v[0:1], v8
	v_cvt_f64_f32_e32 v[6:7], v6
	v_mul_f64 v[0:1], v[0:1], s[4:5]
	v_mul_f64 v[6:7], v[6:7], s[4:5]
	v_cvt_f32_f64_e32 v0, v[0:1]
	v_cvt_f32_f64_e32 v1, v[6:7]
	global_store_dwordx2 v[4:5], v[0:1], off
	global_load_dwordx2 v[0:1], v68, s[6:7] offset:160
	v_add_co_u32 v4, vcc_lo, v4, s3
	v_add_co_ci_u32_e32 v5, vcc_lo, s2, v5, vcc_lo
	s_waitcnt vmcnt(0)
	v_mul_f32_e32 v6, v3, v1
	v_mul_f32_e32 v1, v2, v1
	v_fmac_f32_e32 v6, v2, v0
	v_fma_f32 v2, v0, v3, -v1
	v_cvt_f64_f32_e32 v[0:1], v6
	v_cvt_f64_f32_e32 v[2:3], v2
	v_mul_f64 v[0:1], v[0:1], s[4:5]
	v_mul_f64 v[2:3], v[2:3], s[4:5]
	v_cvt_f32_f64_e32 v0, v[0:1]
	v_cvt_f32_f64_e32 v1, v[2:3]
	global_store_dwordx2 v[4:5], v[0:1], off
	global_load_dwordx2 v[6:7], v68, s[6:7] offset:240
	ds_read2_b64 v[0:3], v73 offset0:30 offset1:40
	v_add_co_u32 v4, vcc_lo, v4, s3
	v_add_co_ci_u32_e32 v5, vcc_lo, s2, v5, vcc_lo
	s_waitcnt vmcnt(0) lgkmcnt(0)
	v_mul_f32_e32 v8, v1, v7
	v_mul_f32_e32 v7, v0, v7
	v_fmac_f32_e32 v8, v0, v6
	v_fma_f32 v6, v6, v1, -v7
	v_cvt_f64_f32_e32 v[0:1], v8
	v_cvt_f64_f32_e32 v[6:7], v6
	v_mul_f64 v[0:1], v[0:1], s[4:5]
	v_mul_f64 v[6:7], v[6:7], s[4:5]
	v_cvt_f32_f64_e32 v0, v[0:1]
	v_cvt_f32_f64_e32 v1, v[6:7]
	global_store_dwordx2 v[4:5], v[0:1], off
	global_load_dwordx2 v[0:1], v68, s[6:7] offset:320
	v_add_co_u32 v4, vcc_lo, v4, s3
	v_add_co_ci_u32_e32 v5, vcc_lo, s2, v5, vcc_lo
	s_waitcnt vmcnt(0)
	v_mul_f32_e32 v6, v3, v1
	v_mul_f32_e32 v1, v2, v1
	v_fmac_f32_e32 v6, v2, v0
	v_fma_f32 v2, v0, v3, -v1
	v_cvt_f64_f32_e32 v[0:1], v6
	v_cvt_f64_f32_e32 v[2:3], v2
	v_mul_f64 v[0:1], v[0:1], s[4:5]
	v_mul_f64 v[2:3], v[2:3], s[4:5]
	v_cvt_f32_f64_e32 v0, v[0:1]
	v_cvt_f32_f64_e32 v1, v[2:3]
	;; [unrolled: 31-line block ×3, first 2 shown]
	global_store_dwordx2 v[4:5], v[0:1], off
	global_load_dwordx2 v[6:7], v68, s[6:7] offset:560
	ds_read2_b64 v[0:3], v73 offset0:70 offset1:80
	v_add_co_u32 v4, vcc_lo, v4, s3
	v_add_co_ci_u32_e32 v5, vcc_lo, s2, v5, vcc_lo
	s_waitcnt vmcnt(0) lgkmcnt(0)
	v_mul_f32_e32 v8, v1, v7
	v_mul_f32_e32 v7, v0, v7
	v_fmac_f32_e32 v8, v0, v6
	v_fma_f32 v6, v6, v1, -v7
	v_cvt_f64_f32_e32 v[0:1], v8
	v_cvt_f64_f32_e32 v[6:7], v6
	v_mul_f64 v[0:1], v[0:1], s[4:5]
	v_mul_f64 v[6:7], v[6:7], s[4:5]
	v_cvt_f32_f64_e32 v0, v[0:1]
	v_cvt_f32_f64_e32 v1, v[6:7]
	global_store_dwordx2 v[4:5], v[0:1], off
	global_load_dwordx2 v[0:1], v68, s[6:7] offset:640
	v_mad_u64_u32 v[4:5], null, 0xa0, s0, v[4:5]
	s_waitcnt vmcnt(0)
	v_mul_f32_e32 v6, v3, v1
	v_mul_f32_e32 v1, v2, v1
	v_fmac_f32_e32 v6, v2, v0
	v_fma_f32 v2, v0, v3, -v1
	v_cvt_f64_f32_e32 v[0:1], v6
	v_cvt_f64_f32_e32 v[2:3], v2
	v_mad_u64_u32 v[6:7], null, s0, v69, 0
	v_mad_u64_u32 v[7:8], null, s1, v69, v[7:8]
	v_mul_f64 v[0:1], v[0:1], s[4:5]
	v_mul_f64 v[2:3], v[2:3], s[4:5]
	v_cvt_f32_f64_e32 v0, v[0:1]
	v_cvt_f32_f64_e32 v1, v[2:3]
	v_lshlrev_b64 v[2:3], 3, v[6:7]
	v_add_co_u32 v2, vcc_lo, v9, v2
	v_add_co_ci_u32_e32 v3, vcc_lo, v10, v3, vcc_lo
	global_store_dwordx2 v[2:3], v[0:1], off
	global_load_dwordx2 v[6:7], v68, s[6:7] offset:720
	ds_read2_b64 v[0:3], v73 offset0:90 offset1:100
	s_waitcnt vmcnt(0) lgkmcnt(0)
	v_mul_f32_e32 v8, v1, v7
	v_mul_f32_e32 v7, v0, v7
	v_fmac_f32_e32 v8, v0, v6
	v_fma_f32 v6, v6, v1, -v7
	v_cvt_f64_f32_e32 v[0:1], v8
	v_cvt_f64_f32_e32 v[6:7], v6
	v_mul_f64 v[0:1], v[0:1], s[4:5]
	v_mul_f64 v[6:7], v[6:7], s[4:5]
	v_cvt_f32_f64_e32 v0, v[0:1]
	v_cvt_f32_f64_e32 v1, v[6:7]
	v_mad_u64_u32 v[5:6], null, 0xa0, s1, v[5:6]
	global_store_dwordx2 v[4:5], v[0:1], off
	global_load_dwordx2 v[0:1], v68, s[6:7] offset:800
	v_add_co_u32 v4, vcc_lo, v4, s3
	v_add_co_ci_u32_e32 v5, vcc_lo, s2, v5, vcc_lo
	s_waitcnt vmcnt(0)
	v_mul_f32_e32 v6, v3, v1
	v_mul_f32_e32 v1, v2, v1
	v_fmac_f32_e32 v6, v2, v0
	v_fma_f32 v2, v0, v3, -v1
	v_cvt_f64_f32_e32 v[0:1], v6
	v_cvt_f64_f32_e32 v[2:3], v2
	v_mul_f64 v[0:1], v[0:1], s[4:5]
	v_mul_f64 v[2:3], v[2:3], s[4:5]
	v_cvt_f32_f64_e32 v0, v[0:1]
	v_cvt_f32_f64_e32 v1, v[2:3]
	global_store_dwordx2 v[4:5], v[0:1], off
	global_load_dwordx2 v[6:7], v68, s[6:7] offset:880
	ds_read2_b64 v[0:3], v73 offset0:110 offset1:120
	v_add_co_u32 v4, vcc_lo, v4, s3
	v_add_co_ci_u32_e32 v5, vcc_lo, s2, v5, vcc_lo
	s_waitcnt vmcnt(0) lgkmcnt(0)
	v_mul_f32_e32 v8, v1, v7
	v_mul_f32_e32 v7, v0, v7
	v_fmac_f32_e32 v8, v0, v6
	v_fma_f32 v6, v6, v1, -v7
	v_cvt_f64_f32_e32 v[0:1], v8
	v_cvt_f64_f32_e32 v[6:7], v6
	v_mul_f64 v[0:1], v[0:1], s[4:5]
	v_mul_f64 v[6:7], v[6:7], s[4:5]
	v_cvt_f32_f64_e32 v0, v[0:1]
	v_cvt_f32_f64_e32 v1, v[6:7]
	global_store_dwordx2 v[4:5], v[0:1], off
	global_load_dwordx2 v[0:1], v68, s[6:7] offset:960
	v_add_co_u32 v4, vcc_lo, v4, s3
	v_add_co_ci_u32_e32 v5, vcc_lo, s2, v5, vcc_lo
	s_waitcnt vmcnt(0)
	v_mul_f32_e32 v6, v3, v1
	v_mul_f32_e32 v1, v2, v1
	v_fmac_f32_e32 v6, v2, v0
	v_fma_f32 v2, v0, v3, -v1
	v_cvt_f64_f32_e32 v[0:1], v6
	v_cvt_f64_f32_e32 v[2:3], v2
	v_mul_f64 v[0:1], v[0:1], s[4:5]
	v_mul_f64 v[2:3], v[2:3], s[4:5]
	v_cvt_f32_f64_e32 v0, v[0:1]
	v_cvt_f32_f64_e32 v1, v[2:3]
	global_store_dwordx2 v[4:5], v[0:1], off
	global_load_dwordx2 v[6:7], v68, s[6:7] offset:1040
	ds_read2_b64 v[0:3], v73 offset0:130 offset1:140
	v_add_co_u32 v4, vcc_lo, v4, s3
	v_add_co_ci_u32_e32 v5, vcc_lo, s2, v5, vcc_lo
	s_waitcnt vmcnt(0) lgkmcnt(0)
	v_mul_f32_e32 v8, v1, v7
	v_mul_f32_e32 v7, v0, v7
	v_fmac_f32_e32 v8, v0, v6
	v_fma_f32 v6, v6, v1, -v7
	v_cvt_f64_f32_e32 v[0:1], v8
	v_cvt_f64_f32_e32 v[6:7], v6
	v_mul_f64 v[0:1], v[0:1], s[4:5]
	v_mul_f64 v[6:7], v[6:7], s[4:5]
	v_cvt_f32_f64_e32 v0, v[0:1]
	v_cvt_f32_f64_e32 v1, v[6:7]
	;; [unrolled: 31-line block ×3, first 2 shown]
	global_store_dwordx2 v[4:5], v[0:1], off
	global_load_dwordx2 v[0:1], v68, s[6:7] offset:1280
	s_waitcnt vmcnt(0)
	v_mul_f32_e32 v4, v3, v1
	v_mul_f32_e32 v1, v2, v1
	v_fmac_f32_e32 v4, v2, v0
	v_fma_f32 v2, v0, v3, -v1
	v_cvt_f64_f32_e32 v[0:1], v4
	v_cvt_f64_f32_e32 v[2:3], v2
	v_mad_u64_u32 v[4:5], null, s0, v67, 0
	v_mad_u64_u32 v[5:6], null, s1, v67, v[5:6]
	v_mul_f64 v[0:1], v[0:1], s[4:5]
	v_mul_f64 v[2:3], v[2:3], s[4:5]
	v_cvt_f32_f64_e32 v0, v[0:1]
	v_cvt_f32_f64_e32 v1, v[2:3]
	v_lshlrev_b64 v[2:3], 3, v[4:5]
	v_add_co_u32 v2, vcc_lo, v9, v2
	v_add_co_ci_u32_e32 v3, vcc_lo, v10, v3, vcc_lo
	global_store_dwordx2 v[2:3], v[0:1], off
.LBB0_15:
	s_endpgm
	.section	.rodata,"a",@progbits
	.p2align	6, 0x0
	.amdhsa_kernel bluestein_single_back_len170_dim1_sp_op_CI_CI
		.amdhsa_group_segment_fixed_size 9520
		.amdhsa_private_segment_fixed_size 0
		.amdhsa_kernarg_size 104
		.amdhsa_user_sgpr_count 6
		.amdhsa_user_sgpr_private_segment_buffer 1
		.amdhsa_user_sgpr_dispatch_ptr 0
		.amdhsa_user_sgpr_queue_ptr 0
		.amdhsa_user_sgpr_kernarg_segment_ptr 1
		.amdhsa_user_sgpr_dispatch_id 0
		.amdhsa_user_sgpr_flat_scratch_init 0
		.amdhsa_user_sgpr_private_segment_size 0
		.amdhsa_wavefront_size32 1
		.amdhsa_uses_dynamic_stack 0
		.amdhsa_system_sgpr_private_segment_wavefront_offset 0
		.amdhsa_system_sgpr_workgroup_id_x 1
		.amdhsa_system_sgpr_workgroup_id_y 0
		.amdhsa_system_sgpr_workgroup_id_z 0
		.amdhsa_system_sgpr_workgroup_info 0
		.amdhsa_system_vgpr_workitem_id 0
		.amdhsa_next_free_vgpr 222
		.amdhsa_next_free_sgpr 14
		.amdhsa_reserve_vcc 1
		.amdhsa_reserve_flat_scratch 0
		.amdhsa_float_round_mode_32 0
		.amdhsa_float_round_mode_16_64 0
		.amdhsa_float_denorm_mode_32 3
		.amdhsa_float_denorm_mode_16_64 3
		.amdhsa_dx10_clamp 1
		.amdhsa_ieee_mode 1
		.amdhsa_fp16_overflow 0
		.amdhsa_workgroup_processor_mode 1
		.amdhsa_memory_ordered 1
		.amdhsa_forward_progress 0
		.amdhsa_shared_vgpr_count 0
		.amdhsa_exception_fp_ieee_invalid_op 0
		.amdhsa_exception_fp_denorm_src 0
		.amdhsa_exception_fp_ieee_div_zero 0
		.amdhsa_exception_fp_ieee_overflow 0
		.amdhsa_exception_fp_ieee_underflow 0
		.amdhsa_exception_fp_ieee_inexact 0
		.amdhsa_exception_int_div_zero 0
	.end_amdhsa_kernel
	.text
.Lfunc_end0:
	.size	bluestein_single_back_len170_dim1_sp_op_CI_CI, .Lfunc_end0-bluestein_single_back_len170_dim1_sp_op_CI_CI
                                        ; -- End function
	.section	.AMDGPU.csdata,"",@progbits
; Kernel info:
; codeLenInByte = 16496
; NumSgprs: 16
; NumVgprs: 222
; ScratchSize: 0
; MemoryBound: 0
; FloatMode: 240
; IeeeMode: 1
; LDSByteSize: 9520 bytes/workgroup (compile time only)
; SGPRBlocks: 1
; VGPRBlocks: 27
; NumSGPRsForWavesPerEU: 16
; NumVGPRsForWavesPerEU: 222
; Occupancy: 4
; WaveLimiterHint : 1
; COMPUTE_PGM_RSRC2:SCRATCH_EN: 0
; COMPUTE_PGM_RSRC2:USER_SGPR: 6
; COMPUTE_PGM_RSRC2:TRAP_HANDLER: 0
; COMPUTE_PGM_RSRC2:TGID_X_EN: 1
; COMPUTE_PGM_RSRC2:TGID_Y_EN: 0
; COMPUTE_PGM_RSRC2:TGID_Z_EN: 0
; COMPUTE_PGM_RSRC2:TIDIG_COMP_CNT: 0
	.text
	.p2alignl 6, 3214868480
	.fill 48, 4, 3214868480
	.type	__hip_cuid_760cc2946c2c5a1f,@object ; @__hip_cuid_760cc2946c2c5a1f
	.section	.bss,"aw",@nobits
	.globl	__hip_cuid_760cc2946c2c5a1f
__hip_cuid_760cc2946c2c5a1f:
	.byte	0                               ; 0x0
	.size	__hip_cuid_760cc2946c2c5a1f, 1

	.ident	"AMD clang version 19.0.0git (https://github.com/RadeonOpenCompute/llvm-project roc-6.4.0 25133 c7fe45cf4b819c5991fe208aaa96edf142730f1d)"
	.section	".note.GNU-stack","",@progbits
	.addrsig
	.addrsig_sym __hip_cuid_760cc2946c2c5a1f
	.amdgpu_metadata
---
amdhsa.kernels:
  - .args:
      - .actual_access:  read_only
        .address_space:  global
        .offset:         0
        .size:           8
        .value_kind:     global_buffer
      - .actual_access:  read_only
        .address_space:  global
        .offset:         8
        .size:           8
        .value_kind:     global_buffer
      - .actual_access:  read_only
        .address_space:  global
        .offset:         16
        .size:           8
        .value_kind:     global_buffer
      - .actual_access:  read_only
        .address_space:  global
        .offset:         24
        .size:           8
        .value_kind:     global_buffer
      - .actual_access:  read_only
        .address_space:  global
        .offset:         32
        .size:           8
        .value_kind:     global_buffer
      - .offset:         40
        .size:           8
        .value_kind:     by_value
      - .address_space:  global
        .offset:         48
        .size:           8
        .value_kind:     global_buffer
      - .address_space:  global
        .offset:         56
        .size:           8
        .value_kind:     global_buffer
      - .address_space:  global
        .offset:         64
        .size:           8
        .value_kind:     global_buffer
      - .address_space:  global
        .offset:         72
        .size:           8
        .value_kind:     global_buffer
      - .offset:         80
        .size:           4
        .value_kind:     by_value
      - .address_space:  global
        .offset:         88
        .size:           8
        .value_kind:     global_buffer
      - .address_space:  global
        .offset:         96
        .size:           8
        .value_kind:     global_buffer
    .group_segment_fixed_size: 9520
    .kernarg_segment_align: 8
    .kernarg_segment_size: 104
    .language:       OpenCL C
    .language_version:
      - 2
      - 0
    .max_flat_workgroup_size: 119
    .name:           bluestein_single_back_len170_dim1_sp_op_CI_CI
    .private_segment_fixed_size: 0
    .sgpr_count:     16
    .sgpr_spill_count: 0
    .symbol:         bluestein_single_back_len170_dim1_sp_op_CI_CI.kd
    .uniform_work_group_size: 1
    .uses_dynamic_stack: false
    .vgpr_count:     222
    .vgpr_spill_count: 0
    .wavefront_size: 32
    .workgroup_processor_mode: 1
amdhsa.target:   amdgcn-amd-amdhsa--gfx1030
amdhsa.version:
  - 1
  - 2
...

	.end_amdgpu_metadata
